;; amdgpu-corpus repo=ROCm/rocFFT kind=compiled arch=gfx1030 opt=O3
	.text
	.amdgcn_target "amdgcn-amd-amdhsa--gfx1030"
	.amdhsa_code_object_version 6
	.protected	fft_rtc_back_len1440_factors_10_16_3_3_wgs_90_tpt_90_halfLds_dp_ip_CI_sbrr_dirReg ; -- Begin function fft_rtc_back_len1440_factors_10_16_3_3_wgs_90_tpt_90_halfLds_dp_ip_CI_sbrr_dirReg
	.globl	fft_rtc_back_len1440_factors_10_16_3_3_wgs_90_tpt_90_halfLds_dp_ip_CI_sbrr_dirReg
	.p2align	8
	.type	fft_rtc_back_len1440_factors_10_16_3_3_wgs_90_tpt_90_halfLds_dp_ip_CI_sbrr_dirReg,@function
fft_rtc_back_len1440_factors_10_16_3_3_wgs_90_tpt_90_halfLds_dp_ip_CI_sbrr_dirReg: ; @fft_rtc_back_len1440_factors_10_16_3_3_wgs_90_tpt_90_halfLds_dp_ip_CI_sbrr_dirReg
; %bb.0:
	s_clause 0x2
	s_load_dwordx2 s[14:15], s[4:5], 0x18
	s_load_dwordx4 s[8:11], s[4:5], 0x0
	s_load_dwordx2 s[12:13], s[4:5], 0x50
	v_mul_u32_u24_e32 v1, 0x2d9, v0
	v_mov_b32_e32 v3, 0
	v_add_nc_u32_sdwa v5, s6, v1 dst_sel:DWORD dst_unused:UNUSED_PAD src0_sel:DWORD src1_sel:WORD_1
	v_mov_b32_e32 v1, 0
	v_mov_b32_e32 v6, v3
	v_mov_b32_e32 v2, 0
	s_waitcnt lgkmcnt(0)
	s_load_dwordx2 s[2:3], s[14:15], 0x0
	v_cmp_lt_u64_e64 s0, s[10:11], 2
	s_and_b32 vcc_lo, exec_lo, s0
	s_cbranch_vccnz .LBB0_8
; %bb.1:
	s_load_dwordx2 s[0:1], s[4:5], 0x10
	v_mov_b32_e32 v1, 0
	s_add_u32 s6, s14, 8
	v_mov_b32_e32 v2, 0
	s_addc_u32 s7, s15, 0
	s_mov_b64 s[18:19], 1
	s_waitcnt lgkmcnt(0)
	s_add_u32 s16, s0, 8
	s_addc_u32 s17, s1, 0
.LBB0_2:                                ; =>This Inner Loop Header: Depth=1
	s_load_dwordx2 s[20:21], s[16:17], 0x0
                                        ; implicit-def: $vgpr7_vgpr8
	s_mov_b32 s0, exec_lo
	s_waitcnt lgkmcnt(0)
	v_or_b32_e32 v4, s21, v6
	v_cmpx_ne_u64_e32 0, v[3:4]
	s_xor_b32 s1, exec_lo, s0
	s_cbranch_execz .LBB0_4
; %bb.3:                                ;   in Loop: Header=BB0_2 Depth=1
	v_cvt_f32_u32_e32 v4, s20
	v_cvt_f32_u32_e32 v7, s21
	s_sub_u32 s0, 0, s20
	s_subb_u32 s22, 0, s21
	v_fmac_f32_e32 v4, 0x4f800000, v7
	v_rcp_f32_e32 v4, v4
	v_mul_f32_e32 v4, 0x5f7ffffc, v4
	v_mul_f32_e32 v7, 0x2f800000, v4
	v_trunc_f32_e32 v7, v7
	v_fmac_f32_e32 v4, 0xcf800000, v7
	v_cvt_u32_f32_e32 v7, v7
	v_cvt_u32_f32_e32 v4, v4
	v_mul_lo_u32 v8, s0, v7
	v_mul_hi_u32 v9, s0, v4
	v_mul_lo_u32 v10, s22, v4
	v_add_nc_u32_e32 v8, v9, v8
	v_mul_lo_u32 v9, s0, v4
	v_add_nc_u32_e32 v8, v8, v10
	v_mul_hi_u32 v10, v4, v9
	v_mul_lo_u32 v11, v4, v8
	v_mul_hi_u32 v12, v4, v8
	v_mul_hi_u32 v13, v7, v9
	v_mul_lo_u32 v9, v7, v9
	v_mul_hi_u32 v14, v7, v8
	v_mul_lo_u32 v8, v7, v8
	v_add_co_u32 v10, vcc_lo, v10, v11
	v_add_co_ci_u32_e32 v11, vcc_lo, 0, v12, vcc_lo
	v_add_co_u32 v9, vcc_lo, v10, v9
	v_add_co_ci_u32_e32 v9, vcc_lo, v11, v13, vcc_lo
	v_add_co_ci_u32_e32 v10, vcc_lo, 0, v14, vcc_lo
	v_add_co_u32 v8, vcc_lo, v9, v8
	v_add_co_ci_u32_e32 v9, vcc_lo, 0, v10, vcc_lo
	v_add_co_u32 v4, vcc_lo, v4, v8
	v_add_co_ci_u32_e32 v7, vcc_lo, v7, v9, vcc_lo
	v_mul_hi_u32 v8, s0, v4
	v_mul_lo_u32 v10, s22, v4
	v_mul_lo_u32 v9, s0, v7
	v_add_nc_u32_e32 v8, v8, v9
	v_mul_lo_u32 v9, s0, v4
	v_add_nc_u32_e32 v8, v8, v10
	v_mul_hi_u32 v10, v4, v9
	v_mul_lo_u32 v11, v4, v8
	v_mul_hi_u32 v12, v4, v8
	v_mul_hi_u32 v13, v7, v9
	v_mul_lo_u32 v9, v7, v9
	v_mul_hi_u32 v14, v7, v8
	v_mul_lo_u32 v8, v7, v8
	v_add_co_u32 v10, vcc_lo, v10, v11
	v_add_co_ci_u32_e32 v11, vcc_lo, 0, v12, vcc_lo
	v_add_co_u32 v9, vcc_lo, v10, v9
	v_add_co_ci_u32_e32 v9, vcc_lo, v11, v13, vcc_lo
	v_add_co_ci_u32_e32 v10, vcc_lo, 0, v14, vcc_lo
	v_add_co_u32 v8, vcc_lo, v9, v8
	v_add_co_ci_u32_e32 v9, vcc_lo, 0, v10, vcc_lo
	v_add_co_u32 v4, vcc_lo, v4, v8
	v_add_co_ci_u32_e32 v11, vcc_lo, v7, v9, vcc_lo
	v_mul_hi_u32 v13, v5, v4
	v_mad_u64_u32 v[9:10], null, v6, v4, 0
	v_mad_u64_u32 v[7:8], null, v5, v11, 0
	;; [unrolled: 1-line block ×3, first 2 shown]
	v_add_co_u32 v4, vcc_lo, v13, v7
	v_add_co_ci_u32_e32 v7, vcc_lo, 0, v8, vcc_lo
	v_add_co_u32 v4, vcc_lo, v4, v9
	v_add_co_ci_u32_e32 v4, vcc_lo, v7, v10, vcc_lo
	v_add_co_ci_u32_e32 v7, vcc_lo, 0, v12, vcc_lo
	v_add_co_u32 v4, vcc_lo, v4, v11
	v_add_co_ci_u32_e32 v9, vcc_lo, 0, v7, vcc_lo
	v_mul_lo_u32 v10, s21, v4
	v_mad_u64_u32 v[7:8], null, s20, v4, 0
	v_mul_lo_u32 v11, s20, v9
	v_sub_co_u32 v7, vcc_lo, v5, v7
	v_add3_u32 v8, v8, v11, v10
	v_sub_nc_u32_e32 v10, v6, v8
	v_subrev_co_ci_u32_e64 v10, s0, s21, v10, vcc_lo
	v_add_co_u32 v11, s0, v4, 2
	v_add_co_ci_u32_e64 v12, s0, 0, v9, s0
	v_sub_co_u32 v13, s0, v7, s20
	v_sub_co_ci_u32_e32 v8, vcc_lo, v6, v8, vcc_lo
	v_subrev_co_ci_u32_e64 v10, s0, 0, v10, s0
	v_cmp_le_u32_e32 vcc_lo, s20, v13
	v_cmp_eq_u32_e64 s0, s21, v8
	v_cndmask_b32_e64 v13, 0, -1, vcc_lo
	v_cmp_le_u32_e32 vcc_lo, s21, v10
	v_cndmask_b32_e64 v14, 0, -1, vcc_lo
	v_cmp_le_u32_e32 vcc_lo, s20, v7
	;; [unrolled: 2-line block ×3, first 2 shown]
	v_cndmask_b32_e64 v15, 0, -1, vcc_lo
	v_cmp_eq_u32_e32 vcc_lo, s21, v10
	v_cndmask_b32_e64 v7, v15, v7, s0
	v_cndmask_b32_e32 v10, v14, v13, vcc_lo
	v_add_co_u32 v13, vcc_lo, v4, 1
	v_add_co_ci_u32_e32 v14, vcc_lo, 0, v9, vcc_lo
	v_cmp_ne_u32_e32 vcc_lo, 0, v10
	v_cndmask_b32_e32 v8, v14, v12, vcc_lo
	v_cndmask_b32_e32 v10, v13, v11, vcc_lo
	v_cmp_ne_u32_e32 vcc_lo, 0, v7
	v_cndmask_b32_e32 v8, v9, v8, vcc_lo
	v_cndmask_b32_e32 v7, v4, v10, vcc_lo
.LBB0_4:                                ;   in Loop: Header=BB0_2 Depth=1
	s_andn2_saveexec_b32 s0, s1
	s_cbranch_execz .LBB0_6
; %bb.5:                                ;   in Loop: Header=BB0_2 Depth=1
	v_cvt_f32_u32_e32 v4, s20
	s_sub_i32 s1, 0, s20
	v_rcp_iflag_f32_e32 v4, v4
	v_mul_f32_e32 v4, 0x4f7ffffe, v4
	v_cvt_u32_f32_e32 v4, v4
	v_mul_lo_u32 v7, s1, v4
	v_mul_hi_u32 v7, v4, v7
	v_add_nc_u32_e32 v4, v4, v7
	v_mul_hi_u32 v4, v5, v4
	v_mul_lo_u32 v7, v4, s20
	v_add_nc_u32_e32 v8, 1, v4
	v_sub_nc_u32_e32 v7, v5, v7
	v_subrev_nc_u32_e32 v9, s20, v7
	v_cmp_le_u32_e32 vcc_lo, s20, v7
	v_cndmask_b32_e32 v7, v7, v9, vcc_lo
	v_cndmask_b32_e32 v4, v4, v8, vcc_lo
	v_cmp_le_u32_e32 vcc_lo, s20, v7
	v_add_nc_u32_e32 v8, 1, v4
	v_cndmask_b32_e32 v7, v4, v8, vcc_lo
	v_mov_b32_e32 v8, v3
.LBB0_6:                                ;   in Loop: Header=BB0_2 Depth=1
	s_or_b32 exec_lo, exec_lo, s0
	s_load_dwordx2 s[0:1], s[6:7], 0x0
	v_mul_lo_u32 v4, v8, s20
	v_mul_lo_u32 v11, v7, s21
	v_mad_u64_u32 v[9:10], null, v7, s20, 0
	s_add_u32 s18, s18, 1
	s_addc_u32 s19, s19, 0
	s_add_u32 s6, s6, 8
	s_addc_u32 s7, s7, 0
	;; [unrolled: 2-line block ×3, first 2 shown]
	v_add3_u32 v4, v10, v11, v4
	v_sub_co_u32 v5, vcc_lo, v5, v9
	v_sub_co_ci_u32_e32 v4, vcc_lo, v6, v4, vcc_lo
	s_waitcnt lgkmcnt(0)
	v_mul_lo_u32 v6, s1, v5
	v_mul_lo_u32 v4, s0, v4
	v_mad_u64_u32 v[1:2], null, s0, v5, v[1:2]
	v_cmp_ge_u64_e64 s0, s[18:19], s[10:11]
	s_and_b32 vcc_lo, exec_lo, s0
	v_add3_u32 v2, v6, v2, v4
	s_cbranch_vccnz .LBB0_9
; %bb.7:                                ;   in Loop: Header=BB0_2 Depth=1
	v_mov_b32_e32 v5, v7
	v_mov_b32_e32 v6, v8
	s_branch .LBB0_2
.LBB0_8:
	v_mov_b32_e32 v8, v6
	v_mov_b32_e32 v7, v5
.LBB0_9:
	s_lshl_b64 s[0:1], s[10:11], 3
	v_mul_hi_u32 v5, 0x2d82d83, v0
	s_add_u32 s0, s14, s0
	s_addc_u32 s1, s15, s1
                                        ; implicit-def: $vgpr12_vgpr13
                                        ; implicit-def: $vgpr16_vgpr17
                                        ; implicit-def: $vgpr32_vgpr33
                                        ; implicit-def: $vgpr36_vgpr37
                                        ; implicit-def: $vgpr28_vgpr29
                                        ; implicit-def: $vgpr20_vgpr21
                                        ; implicit-def: $vgpr48_vgpr49
                                        ; implicit-def: $vgpr40_vgpr41
                                        ; implicit-def: $vgpr56_vgpr57
                                        ; implicit-def: $vgpr52_vgpr53
                                        ; implicit-def: $vgpr76_vgpr77
                                        ; implicit-def: $vgpr64_vgpr65
                                        ; implicit-def: $vgpr60_vgpr61
                                        ; implicit-def: $vgpr72_vgpr73
                                        ; implicit-def: $vgpr68_vgpr69
                                        ; implicit-def: $vgpr80_vgpr81
                                        ; implicit-def: $vgpr24_vgpr25
                                        ; implicit-def: $vgpr44_vgpr45
	s_load_dwordx2 s[0:1], s[0:1], 0x0
	s_load_dwordx2 s[4:5], s[4:5], 0x20
	s_waitcnt lgkmcnt(0)
	v_mul_lo_u32 v3, s0, v8
	v_mul_lo_u32 v4, s1, v7
	v_mad_u64_u32 v[1:2], null, s0, v7, v[1:2]
	v_cmp_gt_u64_e32 vcc_lo, s[4:5], v[7:8]
                                        ; implicit-def: $vgpr8_vgpr9
	v_add3_u32 v2, v4, v2, v3
	v_mul_u32_u24_e32 v3, 0x5a, v5
                                        ; implicit-def: $vgpr4_vgpr5
	v_lshlrev_b64 v[88:89], 4, v[1:2]
	v_sub_nc_u32_e32 v126, v0, v3
	s_and_saveexec_b32 s1, vcc_lo
	s_cbranch_execz .LBB0_13
; %bb.10:
	v_add_nc_u32_e32 v8, 0x90, v126
	v_mad_u64_u32 v[0:1], null, s2, v126, 0
	v_add_nc_u32_e32 v9, 0x120, v126
	v_add_nc_u32_e32 v12, 0x1b0, v126
	v_mad_u64_u32 v[2:3], null, s2, v8, 0
	v_add_nc_u32_e32 v15, 0x240, v126
	v_mad_u64_u32 v[4:5], null, s2, v9, 0
	v_mad_u64_u32 v[10:11], null, s2, v12, 0
	;; [unrolled: 1-line block ×4, first 2 shown]
	v_mov_b32_e32 v1, v3
	v_mov_b32_e32 v3, v5
	v_add_nc_u32_e32 v17, 0x2d0, v126
	v_add_nc_u32_e32 v27, 0x360, v126
	v_mov_b32_e32 v14, v19
	v_mad_u64_u32 v[7:8], null, s3, v8, v[1:2]
	v_mov_b32_e32 v1, v6
	v_mad_u64_u32 v[5:6], null, s3, v9, v[3:4]
	;; [unrolled: 2-line block ×3, first 2 shown]
	v_lshlrev_b64 v[8:9], 4, v[0:1]
	v_add_co_u32 v0, s0, s12, v88
	v_add_co_ci_u32_e64 v1, s0, s13, v89, s0
	v_mov_b32_e32 v3, v7
	v_add_co_u32 v7, s0, v0, v8
	v_add_co_ci_u32_e64 v8, s0, v1, v9, s0
	v_lshlrev_b64 v[2:3], 4, v[2:3]
	v_mad_u64_u32 v[11:12], null, s3, v12, v[6:7]
	v_lshlrev_b64 v[12:13], 4, v[4:5]
	v_mad_u64_u32 v[14:15], null, s3, v15, v[14:15]
	v_add_co_u32 v2, s0, v0, v2
	v_add_co_ci_u32_e64 v3, s0, v1, v3, s0
	v_lshlrev_b64 v[10:11], 4, v[10:11]
	v_add_co_u32 v12, s0, v0, v12
	v_add_co_ci_u32_e64 v13, s0, v1, v13, s0
	v_add_nc_u32_e32 v29, 0x3f0, v126
	v_add_co_u32 v15, s0, v0, v10
	v_mov_b32_e32 v10, v21
	v_mad_u64_u32 v[22:23], null, s2, v27, 0
	v_or_b32_e32 v32, 0x480, v126
	v_add_nc_u32_e32 v33, 0x510, v126
	v_mad_u64_u32 v[24:25], null, s3, v17, v[10:11]
	v_mad_u64_u32 v[25:26], null, s2, v29, 0
	v_mov_b32_e32 v19, v14
	v_add_co_ci_u32_e64 v16, s0, v1, v11, s0
	s_clause 0x1
	global_load_dwordx4 v[6:9], v[7:8], off
	global_load_dwordx4 v[2:5], v[2:3], off
	v_mov_b32_e32 v21, v24
	v_mad_u64_u32 v[23:24], null, s3, v27, v[23:24]
	v_mov_b32_e32 v24, v26
	v_mad_u64_u32 v[27:28], null, s2, v32, 0
	v_lshlrev_b64 v[18:19], 4, v[18:19]
	v_lshlrev_b64 v[20:21], 4, v[20:21]
	v_mad_u64_u32 v[29:30], null, s3, v29, v[24:25]
	v_mad_u64_u32 v[30:31], null, s2, v33, 0
	v_mov_b32_e32 v24, v28
	v_add_co_u32 v18, s0, v0, v18
	v_lshlrev_b64 v[22:23], 4, v[22:23]
	v_mov_b32_e32 v26, v29
	v_mad_u64_u32 v[28:29], null, s3, v32, v[24:25]
	v_mov_b32_e32 v24, v31
	v_add_co_ci_u32_e64 v19, s0, v1, v19, s0
	v_add_co_u32 v20, s0, v0, v20
	v_mad_u64_u32 v[31:32], null, s3, v33, v[24:25]
	v_lshlrev_b64 v[24:25], 4, v[25:26]
	v_add_co_ci_u32_e64 v21, s0, v1, v21, s0
	v_add_co_u32 v22, s0, v0, v22
	v_lshlrev_b64 v[26:27], 4, v[27:28]
	v_add_co_ci_u32_e64 v23, s0, v1, v23, s0
	v_add_co_u32 v24, s0, v0, v24
	;; [unrolled: 3-line block ×3, first 2 shown]
	v_add_co_ci_u32_e64 v39, s0, v1, v27, s0
	v_add_co_u32 v40, s0, v0, v28
	s_clause 0x1
	global_load_dwordx4 v[10:13], v[12:13], off
	global_load_dwordx4 v[14:17], v[15:16], off
	v_add_co_ci_u32_e64 v41, s0, v1, v29, s0
	s_clause 0x5
	global_load_dwordx4 v[30:33], v[18:19], off
	global_load_dwordx4 v[34:37], v[20:21], off
	;; [unrolled: 1-line block ×6, first 2 shown]
	s_mov_b32 s4, exec_lo
                                        ; implicit-def: $vgpr78_vgpr79
                                        ; implicit-def: $vgpr66_vgpr67
                                        ; implicit-def: $vgpr70_vgpr71
                                        ; implicit-def: $vgpr58_vgpr59
                                        ; implicit-def: $vgpr62_vgpr63
                                        ; implicit-def: $vgpr74_vgpr75
                                        ; implicit-def: $vgpr50_vgpr51
                                        ; implicit-def: $vgpr54_vgpr55
                                        ; implicit-def: $vgpr38_vgpr39
                                        ; implicit-def: $vgpr46_vgpr47
	v_cmpx_gt_u32_e32 54, v126
	s_cbranch_execz .LBB0_12
; %bb.11:
	v_add_nc_u32_e32 v48, 0x5a, v126
	v_add_nc_u32_e32 v52, 0xea, v126
	;; [unrolled: 1-line block ×5, first 2 shown]
	v_mad_u64_u32 v[38:39], null, s2, v48, 0
	v_mad_u64_u32 v[40:41], null, s2, v52, 0
	;; [unrolled: 1-line block ×5, first 2 shown]
	v_add_nc_u32_e32 v57, 0x32a, v126
	v_mad_u64_u32 v[48:49], null, s3, v48, v[39:40]
	v_mov_b32_e32 v39, v47
	s_waitcnt vmcnt(3)
	v_mad_u64_u32 v[52:53], null, s3, v52, v[41:42]
	v_mad_u64_u32 v[60:61], null, s2, v57, 0
	;; [unrolled: 1-line block ×3, first 2 shown]
	v_mov_b32_e32 v47, v51
	v_mov_b32_e32 v54, v59
	;; [unrolled: 1-line block ×3, first 2 shown]
	v_add_nc_u32_e32 v67, 0x3ba, v126
	v_add_nc_u32_e32 v69, 0x44a, v126
	v_mad_u64_u32 v[51:52], null, s3, v55, v[47:48]
	v_mad_u64_u32 v[54:55], null, s3, v56, v[54:55]
	v_mov_b32_e32 v55, v61
	v_mad_u64_u32 v[62:63], null, s2, v67, 0
	v_mov_b32_e32 v39, v48
	v_add_nc_u32_e32 v72, 0x4da, v126
	v_mad_u64_u32 v[64:65], null, s3, v57, v[55:56]
	v_mad_u64_u32 v[65:66], null, s2, v69, 0
	v_lshlrev_b64 v[38:39], 4, v[38:39]
	v_mov_b32_e32 v47, v53
	v_add_nc_u32_e32 v73, 0x56a, v126
	v_lshlrev_b64 v[40:41], 4, v[40:41]
	v_mov_b32_e32 v61, v64
	v_mad_u64_u32 v[63:64], null, s3, v67, v[63:64]
	v_mov_b32_e32 v64, v66
	v_mad_u64_u32 v[67:68], null, s2, v72, 0
	v_add_co_u32 v38, s0, v0, v38
	v_mad_u64_u32 v[69:70], null, s3, v69, v[64:65]
	v_lshlrev_b64 v[52:53], 4, v[46:47]
	v_mad_u64_u32 v[70:71], null, s2, v73, 0
	v_mov_b32_e32 v59, v54
	v_add_co_ci_u32_e64 v39, s0, v1, v39, s0
	v_add_co_u32 v40, s0, v0, v40
	v_lshlrev_b64 v[50:51], 4, v[50:51]
	v_mov_b32_e32 v64, v68
	v_add_co_ci_u32_e64 v41, s0, v1, v41, s0
	v_add_co_u32 v52, s0, v0, v52
	v_lshlrev_b64 v[58:59], 4, v[58:59]
	v_add_co_ci_u32_e64 v53, s0, v1, v53, s0
	v_mov_b32_e32 v66, v69
	v_mad_u64_u32 v[68:69], null, s3, v72, v[64:65]
	v_mov_b32_e32 v64, v71
	v_add_co_u32 v50, s0, v0, v50
	v_lshlrev_b64 v[60:61], 4, v[60:61]
	v_add_co_ci_u32_e64 v51, s0, v1, v51, s0
	v_add_co_u32 v58, s0, v0, v58
	v_lshlrev_b64 v[62:63], 4, v[62:63]
	v_mad_u64_u32 v[71:72], null, s3, v73, v[64:65]
	v_add_co_ci_u32_e64 v59, s0, v1, v59, s0
	v_add_co_u32 v60, s0, v0, v60
	v_lshlrev_b64 v[64:65], 4, v[65:66]
	v_add_co_ci_u32_e64 v61, s0, v1, v61, s0
	v_add_co_u32 v62, s0, v0, v62
	v_lshlrev_b64 v[66:67], 4, v[67:68]
	v_add_co_ci_u32_e64 v63, s0, v1, v63, s0
	v_add_co_u32 v64, s0, v0, v64
	v_lshlrev_b64 v[68:69], 4, v[70:71]
	v_add_co_ci_u32_e64 v65, s0, v1, v65, s0
	v_add_co_u32 v82, s0, v0, v66
	v_add_co_ci_u32_e64 v83, s0, v1, v67, s0
	v_add_co_u32 v0, s0, v0, v68
	s_clause 0x3
	global_load_dwordx4 v[46:49], v[38:39], off
	global_load_dwordx4 v[38:41], v[40:41], off
	;; [unrolled: 1-line block ×4, first 2 shown]
	v_add_co_ci_u32_e64 v1, s0, v1, v69, s0
	s_clause 0x5
	global_load_dwordx4 v[74:77], v[58:59], off
	global_load_dwordx4 v[78:81], v[60:61], off
	;; [unrolled: 1-line block ×6, first 2 shown]
.LBB0_12:
	s_or_b32 exec_lo, exec_lo, s4
.LBB0_13:
	s_or_b32 exec_lo, exec_lo, s1
	s_waitcnt vmcnt(2)
	v_add_f64 v[0:1], v[36:37], v[28:29]
	s_waitcnt vmcnt(0)
	v_add_f64 v[82:83], v[16:17], v[24:25]
	v_add_f64 v[106:107], v[34:35], v[26:27]
	;; [unrolled: 1-line block ×3, first 2 shown]
	v_add_f64 v[110:111], v[14:15], -v[22:23]
	v_add_f64 v[112:113], v[34:35], -v[26:27]
	s_mov_b32 s16, 0x134454ff
	s_mov_b32 s17, 0xbfee6f0e
	;; [unrolled: 1-line block ×4, first 2 shown]
	v_add_f64 v[94:95], v[14:15], -v[34:35]
	v_add_f64 v[98:99], v[34:35], -v[14:15]
	;; [unrolled: 1-line block ×6, first 2 shown]
	v_add_f64 v[118:119], v[30:31], v[42:43]
	v_add_f64 v[120:121], v[10:11], v[18:19]
	v_add_f64 v[127:128], v[16:17], -v[24:25]
	v_add_f64 v[129:130], v[36:37], -v[28:29]
	s_mov_b32 s14, 0x4755a5e
	s_mov_b32 s15, 0xbfe2cf23
	v_fma_f64 v[0:1], v[0:1], -0.5, v[4:5]
	v_fma_f64 v[82:83], v[82:83], -0.5, v[4:5]
	;; [unrolled: 1-line block ×4, first 2 shown]
	v_add_f64 v[2:3], v[2:3], v[14:15]
	s_mov_b32 s7, 0x3fe2cf23
	s_mov_b32 s6, s14
	v_add_f64 v[84:85], v[10:11], -v[30:31]
	v_add_f64 v[86:87], v[18:19], -v[42:43]
	;; [unrolled: 1-line block ×6, first 2 shown]
	v_add_f64 v[131:132], v[10:11], v[6:7]
	v_add_f64 v[102:103], v[102:103], v[104:105]
	;; [unrolled: 1-line block ×3, first 2 shown]
	v_fma_f64 v[118:119], v[118:119], -0.5, v[6:7]
	v_fma_f64 v[6:7], v[120:121], -0.5, v[6:7]
	s_mov_b32 s10, 0x372fe950
	s_mov_b32 s11, 0x3fd3c6ef
	v_add_f64 v[90:91], v[30:31], -v[10:11]
	v_add_f64 v[92:93], v[42:43], -v[18:19]
	v_fma_f64 v[133:134], v[110:111], s[4:5], v[0:1]
	v_fma_f64 v[135:136], v[112:113], s[16:17], v[82:83]
	;; [unrolled: 1-line block ×6, first 2 shown]
	v_add_f64 v[82:83], v[54:55], -v[74:75]
	v_add_f64 v[137:138], v[58:59], -v[66:67]
	v_add_f64 v[149:150], v[70:71], v[78:79]
	v_add_f64 v[151:152], v[94:95], v[96:97]
	;; [unrolled: 1-line block ×8, first 2 shown]
	v_fma_f64 v[153:154], v[122:123], s[16:17], v[118:119]
	v_fma_f64 v[118:119], v[122:123], s[4:5], v[118:119]
	;; [unrolled: 1-line block ×4, first 2 shown]
	v_add_f64 v[143:144], v[78:79], -v[50:51]
	v_add_f64 v[120:121], v[70:71], -v[62:63]
	v_fma_f64 v[116:117], v[112:113], s[6:7], v[133:134]
	v_fma_f64 v[133:134], v[129:130], s[4:5], v[108:109]
	;; [unrolled: 1-line block ×8, first 2 shown]
	v_add_f64 v[112:113], v[52:53], -v[80:81]
	v_add_f64 v[145:146], v[64:65], -v[72:73]
	v_add_f64 v[90:91], v[90:91], v[92:93]
	s_mov_b32 s18, 0x9b97f4a8
	v_add_f64 v[2:3], v[2:3], v[26:27]
	v_add_f64 v[131:132], v[42:43], v[131:132]
	s_mov_b32 s19, 0x3fe9e377
	v_fma_f64 v[86:87], v[86:87], -0.5, v[40:41]
	s_mov_b32 s23, 0xbfe9e377
	s_mov_b32 s22, s18
	v_add_f64 v[139:140], v[50:51], -v[78:79]
	v_add_f64 v[141:142], v[62:63], -v[70:71]
	;; [unrolled: 1-line block ×4, first 2 shown]
	v_fma_f64 v[14:15], v[102:103], s[10:11], v[116:117]
	v_fma_f64 v[106:107], v[127:128], s[14:15], v[133:134]
	;; [unrolled: 1-line block ×6, first 2 shown]
	v_add_f64 v[110:111], v[72:73], v[80:81]
	v_add_f64 v[0:1], v[52:53], -v[64:65]
	v_add_f64 v[102:103], v[80:81], -v[72:73]
	v_fma_f64 v[114:115], v[124:125], s[14:15], v[153:154]
	v_fma_f64 v[116:117], v[124:125], s[6:7], v[118:119]
	v_fma_f64 v[118:119], v[149:150], -0.5, v[38:39]
	v_fma_f64 v[124:125], v[122:123], s[14:15], v[98:99]
	v_fma_f64 v[122:123], v[122:123], s[6:7], v[157:158]
	v_fma_f64 v[127:128], v[155:156], -0.5, v[38:39]
	v_fma_f64 v[34:35], v[151:152], s[10:11], v[34:35]
	v_fma_f64 v[26:27], v[151:152], s[10:11], v[104:105]
	v_add_f64 v[149:150], v[50:51], -v[62:63]
	v_add_f64 v[131:132], v[18:19], v[131:132]
	v_add_f64 v[2:3], v[2:3], v[22:23]
	;; [unrolled: 1-line block ×4, first 2 shown]
	v_mul_f64 v[104:105], v[14:15], s[14:15]
	v_fma_f64 v[98:99], v[100:101], s[10:11], v[106:107]
	v_mul_f64 v[133:134], v[6:7], s[16:17]
	v_fma_f64 v[92:93], v[100:101], s[10:11], v[108:109]
	v_add_f64 v[106:107], v[82:83], v[137:138]
	v_mul_f64 v[108:109], v[94:95], s[14:15]
	v_fma_f64 v[82:83], v[110:111], -0.5, v[40:41]
	v_add_f64 v[110:111], v[78:79], -v[70:71]
	v_mul_f64 v[100:101], v[96:97], s[16:17]
	v_fma_f64 v[114:115], v[84:85], s[10:11], v[114:115]
	v_fma_f64 v[84:85], v[84:85], s[10:11], v[116:117]
	;; [unrolled: 1-line block ×8, first 2 shown]
	v_add_f64 v[112:113], v[74:75], v[66:67]
	v_add_f64 v[157:158], v[54:55], v[58:59]
	s_mov_b32 s21, 0xbfd3c6ef
	s_mov_b32 s20, s10
	v_add_f64 v[151:152], v[141:142], v[139:140]
	v_fma_f64 v[22:23], v[34:35], s[18:19], v[104:105]
	v_add_f64 v[146:147], v[129:130], v[147:148]
	v_fma_f64 v[104:105], v[98:99], s[10:11], v[133:134]
	v_cmp_gt_u32_e64 s0, 54, v126
	v_fma_f64 v[108:109], v[26:27], s[22:23], v[108:109]
	v_fma_f64 v[120:121], v[149:150], s[4:5], v[82:83]
	;; [unrolled: 1-line block ×10, first 2 shown]
	v_add_f64 v[0:1], v[2:3], v[131:132]
	v_add_f64 v[130:131], v[131:132], -v[2:3]
	v_fma_f64 v[116:117], v[112:113], -0.5, v[46:47]
	v_fma_f64 v[118:119], v[157:158], -0.5, v[46:47]
	v_add_f64 v[2:3], v[22:23], v[114:115]
	v_add_f64 v[132:133], v[114:115], -v[22:23]
	v_add_f64 v[134:135], v[124:125], -v[104:105]
	v_add_f64 v[136:137], v[124:125], v[104:105]
	v_add_f64 v[114:115], v[56:57], -v[60:61]
	v_add_f64 v[128:129], v[108:109], v[84:85]
	v_add_f64 v[142:143], v[84:85], -v[108:109]
	v_fma_f64 v[22:23], v[110:111], s[6:7], v[120:121]
	v_fma_f64 v[84:85], v[149:150], s[6:7], v[155:156]
	v_add_f64 v[124:125], v[76:77], -v[68:69]
	v_add_f64 v[138:139], v[90:91], v[100:101]
	v_add_f64 v[140:141], v[90:91], -v[100:101]
	v_fma_f64 v[90:91], v[110:111], s[14:15], v[82:83]
	v_add_f64 v[82:83], v[74:75], -v[54:55]
	v_add_f64 v[100:101], v[66:67], -v[58:59]
	v_fma_f64 v[148:149], v[149:150], s[14:15], v[86:87]
	v_fma_f64 v[102:103], v[151:152], s[10:11], v[159:160]
	;; [unrolled: 1-line block ×6, first 2 shown]
	v_mul_u32_u24_e32 v84, 10, v126
	v_add_f64 v[122:123], v[82:83], v[100:101]
	v_lshl_add_u32 v127, v84, 3, 0
	v_fma_f64 v[100:101], v[153:154], s[10:11], v[163:164]
	v_fma_f64 v[82:83], v[151:152], s[10:11], v[161:162]
	ds_write_b128 v127, v[0:3]
	ds_write_b128 v127, v[136:139] offset:16
	ds_write_b128 v127, v[128:131] offset:32
	;; [unrolled: 1-line block ×4, first 2 shown]
	v_fma_f64 v[84:85], v[124:125], s[14:15], v[86:87]
	v_mul_f64 v[2:3], v[22:23], s[14:15]
	v_mul_f64 v[86:87], v[104:105], s[16:17]
	v_fma_f64 v[0:1], v[114:115], s[14:15], v[108:109]
	v_fma_f64 v[108:109], v[106:107], s[10:11], v[84:85]
	;; [unrolled: 1-line block ×8, first 2 shown]
	v_add_f64 v[0:1], v[108:109], -v[110:111]
	v_add_f64 v[2:3], v[112:113], -v[120:121]
	s_and_saveexec_b32 s1, s0
	s_cbranch_execz .LBB0_15
; %bb.14:
	v_add_f64 v[46:47], v[46:47], v[54:55]
	v_add_f64 v[38:39], v[38:39], v[50:51]
	v_mul_f64 v[50:51], v[124:125], s[4:5]
	v_mul_f64 v[128:129], v[114:115], s[4:5]
	;; [unrolled: 1-line block ×4, first 2 shown]
	v_add_f64 v[46:47], v[46:47], v[74:75]
	v_add_f64 v[38:39], v[38:39], v[78:79]
	v_mul_f64 v[78:79], v[114:115], s[6:7]
	v_add_f64 v[50:51], v[118:119], -v[50:51]
	v_add_f64 v[116:117], v[128:129], v[116:117]
	v_mul_f64 v[114:115], v[122:123], s[10:11]
	v_mul_f64 v[118:119], v[86:87], s[14:15]
	v_add_f64 v[46:47], v[46:47], v[66:67]
	v_add_f64 v[38:39], v[70:71], v[38:39]
	v_mul_f64 v[70:71], v[90:91], s[16:17]
	v_add_f64 v[50:51], v[78:79], v[50:51]
	v_add_f64 v[116:117], v[124:125], v[116:117]
	v_fma_f64 v[78:79], v[82:83], s[22:23], v[118:119]
	v_add_f64 v[46:47], v[58:59], v[46:47]
	v_add_f64 v[38:39], v[62:63], v[38:39]
	v_fma_f64 v[62:63], v[84:85], s[20:21], v[70:71]
	v_add_f64 v[50:51], v[114:115], v[50:51]
	v_add_f64 v[118:119], v[106:107], v[116:117]
	;; [unrolled: 1-line block ×5, first 2 shown]
	v_add_f64 v[120:121], v[46:47], -v[38:39]
	v_add_f64 v[108:109], v[50:51], v[62:63]
	v_add_f64 v[116:117], v[118:119], -v[78:79]
	v_add_f64 v[118:119], v[118:119], v[78:79]
	v_add_f64 v[114:115], v[50:51], -v[62:63]
	ds_write_b128 v127, v[0:3] offset:7248
	ds_write_b128 v127, v[110:113] offset:7200
	;; [unrolled: 1-line block ×5, first 2 shown]
.LBB0_15:
	s_or_b32 exec_lo, exec_lo, s1
	v_add_f64 v[38:39], v[32:33], v[44:45]
	v_add_f64 v[46:47], v[12:13], v[20:21]
	;; [unrolled: 1-line block ×5, first 2 shown]
	v_add_f64 v[10:11], v[10:11], -v[18:19]
	v_add_f64 v[4:5], v[4:5], v[16:17]
	v_add_f64 v[16:17], v[30:31], -v[42:43]
	v_add_f64 v[50:51], v[54:55], -v[58:59]
	;; [unrolled: 1-line block ×7, first 2 shown]
	v_mul_f64 v[110:111], v[14:15], s[18:19]
	v_mul_f64 v[98:99], v[98:99], s[4:5]
	;; [unrolled: 1-line block ×4, first 2 shown]
	s_waitcnt lgkmcnt(0)
	s_barrier
	buffer_gl0_inv
	v_fma_f64 v[18:19], v[38:39], -0.5, v[8:9]
	v_fma_f64 v[8:9], v[46:47], -0.5, v[8:9]
	;; [unrolled: 1-line block ×4, first 2 shown]
	v_add_f64 v[38:39], v[20:21], -v[44:45]
	v_add_f64 v[32:33], v[32:33], v[78:79]
	v_add_f64 v[4:5], v[4:5], v[36:37]
	v_add_f64 v[36:37], v[44:45], -v[20:21]
	v_add_f64 v[70:71], v[60:61], -v[68:69]
	;; [unrolled: 1-line block ×3, first 2 shown]
	v_fma_f64 v[113:114], v[34:35], s[6:7], v[110:111]
	v_fma_f64 v[6:7], v[6:7], s[10:11], v[98:99]
	v_fma_f64 v[117:118], v[92:93], s[4:5], -v[96:97]
	v_fma_f64 v[58:59], v[10:11], s[4:5], v[18:19]
	v_fma_f64 v[62:63], v[16:17], s[16:17], v[8:9]
	;; [unrolled: 1-line block ×6, first 2 shown]
	v_add_f64 v[30:31], v[30:31], v[38:39]
	v_add_f64 v[32:33], v[44:45], v[32:33]
	;; [unrolled: 1-line block ×6, first 2 shown]
	v_fma_f64 v[36:37], v[16:17], s[6:7], v[58:59]
	v_fma_f64 v[38:39], v[10:11], s[6:7], v[62:63]
	v_fma_f64 v[8:9], v[10:11], s[14:15], v[8:9]
	v_fma_f64 v[10:11], v[16:17], s[14:15], v[18:19]
	v_mul_f64 v[16:17], v[102:103], s[6:7]
	v_mul_f64 v[18:19], v[104:105], s[10:11]
	v_fma_f64 v[62:63], v[54:55], s[6:7], v[106:107]
	v_fma_f64 v[66:67], v[50:51], s[6:7], v[108:109]
	v_add_f64 v[96:97], v[20:21], v[32:33]
	v_add_f64 v[4:5], v[4:5], v[24:25]
	v_fma_f64 v[24:25], v[26:27], s[6:7], -v[94:95]
	v_mad_i32_i24 v104, 0xffffffb8, v126, v127
	v_add_nc_u32_e32 v108, 0x5a, v126
	v_add_nc_u32_e32 v102, 0x400, v104
	;; [unrolled: 1-line block ×7, first 2 shown]
	v_fma_f64 v[26:27], v[30:31], s[10:11], v[36:37]
	v_fma_f64 v[115:116], v[28:29], s[10:11], v[38:39]
	;; [unrolled: 1-line block ×8, first 2 shown]
	v_add_nc_u32_e32 v78, 0x2400, v104
	ds_read2_b64 v[12:15], v104 offset1:90
	ds_read2_b64 v[36:39], v102 offset0:52 offset1:142
	ds_read2_b64 v[16:19], v103 offset0:104 offset1:194
	;; [unrolled: 1-line block ×5, first 2 shown]
	v_add_f64 v[92:93], v[4:5], v[96:97]
	v_add_f64 v[98:99], v[96:97], -v[4:5]
	v_add_f64 v[94:95], v[26:27], v[113:114]
	v_add_f64 v[109:110], v[115:116], v[6:7]
	v_add_f64 v[115:116], v[115:116], -v[6:7]
	v_add_f64 v[111:112], v[28:29], v[117:118]
	v_add_f64 v[96:97], v[30:31], v[24:25]
	v_add_f64 v[113:114], v[26:27], -v[113:114]
	v_add_f64 v[4:5], v[62:63], -v[44:45]
	;; [unrolled: 1-line block ×5, first 2 shown]
	ds_read2_b64 v[28:31], v107 offset0:56 offset1:146
	ds_read2_b64 v[24:27], v78 offset0:108 offset1:198
	s_waitcnt lgkmcnt(0)
	s_barrier
	buffer_gl0_inv
	ds_write_b128 v127, v[92:95]
	ds_write_b128 v127, v[109:112] offset:16
	ds_write_b128 v127, v[96:99] offset:32
	ds_write_b128 v127, v[113:116] offset:48
	ds_write_b128 v127, v[117:120] offset:64
	s_and_saveexec_b32 s1, s0
	s_cbranch_execz .LBB0_17
; %bb.16:
	v_add_f64 v[48:49], v[48:49], v[56:57]
	v_add_f64 v[40:41], v[40:41], v[52:53]
	v_mul_f64 v[52:53], v[54:55], s[4:5]
	v_mul_f64 v[56:57], v[50:51], s[4:5]
	;; [unrolled: 1-line block ×4, first 2 shown]
	s_mov_b32 s4, 0x372fe950
	s_mov_b32 s5, 0xbfd3c6ef
	;; [unrolled: 1-line block ×4, first 2 shown]
	v_add_f64 v[48:49], v[48:49], v[76:77]
	v_add_f64 v[40:41], v[40:41], v[80:81]
	;; [unrolled: 1-line block ×3, first 2 shown]
	v_add_f64 v[42:43], v[42:43], -v[56:57]
	v_mul_f64 v[52:53], v[70:71], s[10:11]
	v_mul_f64 v[56:57], v[74:75], s[10:11]
	;; [unrolled: 1-line block ×4, first 2 shown]
	s_mov_b32 s4, 0x134454ff
	s_mov_b32 s5, 0x3fee6f0e
	;; [unrolled: 1-line block ×4, first 2 shown]
	v_add_f64 v[48:49], v[48:49], v[68:69]
	v_add_f64 v[40:41], v[72:73], v[40:41]
	v_add_f64 v[46:47], v[46:47], -v[50:51]
	v_add_f64 v[42:43], v[42:43], -v[54:55]
	v_fma_f64 v[54:55], v[84:85], s[4:5], v[70:71]
	v_fma_f64 v[68:69], v[82:83], s[6:7], v[74:75]
	v_add_f64 v[50:51], v[60:61], v[48:49]
	v_add_f64 v[60:61], v[64:65], v[40:41]
	;; [unrolled: 1-line block ×9, first 2 shown]
	v_add_f64 v[50:51], v[50:51], -v[60:61]
	v_add_f64 v[52:53], v[56:57], -v[54:55]
	;; [unrolled: 1-line block ×3, first 2 shown]
	v_mul_u32_u24_e32 v56, 10, v108
	v_lshl_add_u32 v56, v56, 3, 0
	ds_write_b128 v56, v[4:7] offset:48
	ds_write_b128 v56, v[40:43]
	ds_write_b128 v56, v[44:47] offset:16
	ds_write_b128 v56, v[48:51] offset:32
	;; [unrolled: 1-line block ×3, first 2 shown]
.LBB0_17:
	s_or_b32 exec_lo, exec_lo, s1
	v_and_b32_e32 v40, 0xff, v126
	v_mov_b32_e32 v42, 15
	s_waitcnt lgkmcnt(0)
	s_barrier
	buffer_gl0_inv
	v_mul_lo_u16 v40, 0xcd, v40
	s_mov_b32 s0, 0x667f3bcd
	s_mov_b32 s1, 0x3fe6a09e
	;; [unrolled: 1-line block ×4, first 2 shown]
	v_lshrrev_b16 v40, 11, v40
	s_mov_b32 s4, 0xcf328d46
	s_mov_b32 s5, 0xbfed906b
	;; [unrolled: 1-line block ×4, first 2 shown]
	v_mul_lo_u16 v41, v40, 10
	s_mov_b32 s6, 0xa6aea964
	s_mov_b32 s7, 0x3fd87de2
	;; [unrolled: 1-line block ×4, first 2 shown]
	v_sub_nc_u16 v41, v126, v41
	v_mul_u32_u24_sdwa v42, v41, v42 dst_sel:DWORD dst_unused:UNUSED_PAD src0_sel:BYTE_0 src1_sel:DWORD
	v_lshlrev_b32_e32 v50, 4, v42
	s_clause 0xe
	global_load_dwordx4 v[42:45], v50, s[8:9] offset:16
	global_load_dwordx4 v[46:49], v50, s[8:9] offset:32
	;; [unrolled: 1-line block ×6, first 2 shown]
	global_load_dwordx4 v[84:87], v50, s[8:9]
	global_load_dwordx4 v[90:93], v50, s[8:9] offset:144
	global_load_dwordx4 v[94:97], v50, s[8:9] offset:160
	;; [unrolled: 1-line block ×8, first 2 shown]
	ds_read2_b64 v[127:130], v102 offset0:52 offset1:142
	ds_read2_b64 v[52:55], v104 offset1:90
	ds_read2_b64 v[131:134], v79 offset0:132 offset1:222
	s_waitcnt vmcnt(14) lgkmcnt(2)
	v_mul_f64 v[143:144], v[127:128], v[44:45]
	v_mul_f64 v[44:45], v[36:37], v[44:45]
	s_waitcnt vmcnt(13)
	v_mul_f64 v[145:146], v[129:130], v[48:49]
	v_mul_f64 v[147:148], v[38:39], v[48:49]
	s_waitcnt vmcnt(12)
	v_mul_f64 v[149:150], v[16:17], v[66:67]
	s_waitcnt vmcnt(11)
	v_mul_f64 v[151:152], v[18:19], v[70:71]
	ds_read2_b64 v[48:51], v103 offset0:104 offset1:194
	ds_read2_b64 v[135:138], v106 offset0:28 offset1:118
	;; [unrolled: 1-line block ×3, first 2 shown]
	s_waitcnt vmcnt(9)
	v_mul_f64 v[155:156], v[22:23], v[82:83]
	s_waitcnt vmcnt(6) lgkmcnt(3)
	v_mul_f64 v[161:162], v[133:134], v[96:97]
	ds_read2_b64 v[139:142], v107 offset0:56 offset1:146
	ds_read2_b64 v[76:79], v78 offset0:108 offset1:198
	v_mul_f64 v[153:154], v[20:21], v[74:75]
	s_waitcnt vmcnt(2)
	v_mul_f64 v[163:164], v[26:27], v[119:120]
	v_mul_f64 v[157:158], v[54:55], v[86:87]
	;; [unrolled: 1-line block ×5, first 2 shown]
	s_waitcnt vmcnt(0) lgkmcnt(0)
	s_barrier
	buffer_gl0_inv
	v_fma_f64 v[143:144], v[36:37], v[42:43], v[143:144]
	v_fma_f64 v[42:43], v[127:128], v[42:43], -v[44:45]
	v_mul_f64 v[127:128], v[30:31], v[111:112]
	v_mul_f64 v[44:45], v[28:29], v[100:101]
	v_fma_f64 v[38:39], v[38:39], v[46:47], v[145:146]
	v_mul_f64 v[145:146], v[24:25], v[115:116]
	v_fma_f64 v[46:47], v[129:130], v[46:47], -v[147:148]
	v_mul_f64 v[66:67], v[48:49], v[66:67]
	v_mul_f64 v[129:130], v[60:61], v[58:59]
	v_fma_f64 v[36:37], v[48:49], v[64:65], -v[149:150]
	v_fma_f64 v[48:49], v[50:51], v[68:69], -v[151:152]
	v_mul_f64 v[50:51], v[50:51], v[70:71]
	v_mul_f64 v[70:71], v[62:63], v[123:124]
	;; [unrolled: 1-line block ×3, first 2 shown]
	v_fma_f64 v[147:148], v[137:138], v[80:81], -v[155:156]
	v_mul_f64 v[82:83], v[137:138], v[82:83]
	v_fma_f64 v[137:138], v[34:35], v[94:95], v[161:162]
	v_mul_f64 v[34:35], v[34:35], v[96:97]
	v_mul_f64 v[96:97], v[139:140], v[100:101]
	;; [unrolled: 1-line block ×4, first 2 shown]
	v_fma_f64 v[135:136], v[135:136], v[72:73], -v[153:154]
	v_fma_f64 v[32:33], v[32:33], v[90:91], v[159:160]
	v_fma_f64 v[14:15], v[14:15], v[84:85], v[157:158]
	v_fma_f64 v[100:101], v[141:142], v[109:110], -v[127:128]
	v_fma_f64 v[127:128], v[78:79], v[117:118], -v[163:164]
	v_mul_f64 v[78:79], v[78:79], v[119:120]
	v_mul_f64 v[119:120], v[10:11], v[123:124]
	v_fma_f64 v[44:45], v[139:140], v[98:99], -v[44:45]
	v_fma_f64 v[76:77], v[76:77], v[113:114], -v[145:146]
	v_fma_f64 v[123:124], v[8:9], v[56:57], v[129:130]
	v_fma_f64 v[54:55], v[54:55], v[84:85], -v[86:87]
	v_fma_f64 v[16:17], v[16:17], v[64:65], v[66:67]
	;; [unrolled: 2-line block ×3, first 2 shown]
	v_fma_f64 v[20:21], v[20:21], v[72:73], v[74:75]
	v_fma_f64 v[18:19], v[18:19], v[68:69], v[50:51]
	;; [unrolled: 1-line block ×3, first 2 shown]
	v_add_f64 v[74:75], v[38:39], -v[137:138]
	v_fma_f64 v[34:35], v[133:134], v[94:95], -v[34:35]
	v_fma_f64 v[64:65], v[28:29], v[98:99], v[96:97]
	v_fma_f64 v[50:51], v[30:31], v[109:110], v[111:112]
	v_fma_f64 v[24:25], v[24:25], v[113:114], v[115:116]
	v_add_nc_u32_e32 v109, 0x1c00, v104
	v_add_f64 v[72:73], v[48:49], -v[100:101]
	v_fma_f64 v[26:27], v[26:27], v[117:118], v[78:79]
	v_fma_f64 v[62:63], v[62:63], v[121:122], -v[119:120]
	v_add_f64 v[28:29], v[36:37], -v[44:45]
	v_add_f64 v[44:45], v[143:144], -v[32:33]
	;; [unrolled: 1-line block ×11, first 2 shown]
	v_fma_f64 v[48:49], v[48:49], 2.0, -v[72:73]
	v_add_f64 v[26:27], v[22:23], -v[26:27]
	v_add_f64 v[62:63], v[54:55], -v[62:63]
	v_fma_f64 v[86:87], v[143:144], 2.0, -v[44:45]
	v_add_f64 v[78:79], v[68:69], v[28:29]
	v_add_f64 v[84:85], v[44:45], v[70:71]
	;; [unrolled: 1-line block ×3, first 2 shown]
	v_fma_f64 v[12:13], v[12:13], 2.0, -v[68:69]
	v_add_f64 v[80:81], v[10:11], v[72:73]
	v_fma_f64 v[34:35], v[135:136], 2.0, -v[70:71]
	v_fma_f64 v[14:15], v[14:15], 2.0, -v[10:11]
	;; [unrolled: 1-line block ×7, first 2 shown]
	v_add_f64 v[24:25], v[64:65], -v[24:25]
	v_fma_f64 v[46:47], v[46:47], 2.0, -v[66:67]
	v_fma_f64 v[42:43], v[38:39], 2.0, -v[74:75]
	;; [unrolled: 1-line block ×3, first 2 shown]
	v_add_f64 v[50:51], v[62:63], -v[50:51]
	v_add_f64 v[26:27], v[66:67], -v[26:27]
	v_fma_f64 v[90:91], v[68:69], 2.0, -v[78:79]
	v_fma_f64 v[44:45], v[44:45], 2.0, -v[84:85]
	;; [unrolled: 1-line block ×5, first 2 shown]
	v_fma_f64 v[54:55], v[84:85], s[0:1], v[78:79]
	v_add_f64 v[16:17], v[12:13], -v[16:17]
	v_add_f64 v[34:35], v[32:33], -v[34:35]
	;; [unrolled: 1-line block ×4, first 2 shown]
	v_fma_f64 v[20:21], v[64:65], 2.0, -v[24:25]
	v_add_f64 v[64:65], v[46:47], -v[70:71]
	v_add_f64 v[22:23], v[42:43], -v[22:23]
	v_fma_f64 v[92:93], v[62:63], 2.0, -v[50:51]
	v_fma_f64 v[62:63], v[82:83], s[0:1], v[80:81]
	v_fma_f64 v[66:67], v[66:67], 2.0, -v[26:27]
	v_fma_f64 v[74:75], v[26:27], s[0:1], v[50:51]
	v_fma_f64 v[70:71], v[44:45], s[16:17], v[90:91]
	v_add_f64 v[48:49], v[68:69], -v[48:49]
	v_fma_f64 v[72:73], v[76:77], s[16:17], v[10:11]
	v_fma_f64 v[96:97], v[24:25], s[0:1], v[54:55]
	v_fma_f64 v[12:13], v[12:13], 2.0, -v[16:17]
	v_add_f64 v[94:95], v[16:17], v[34:35]
	v_fma_f64 v[86:87], v[86:87], 2.0, -v[38:39]
	v_fma_f64 v[14:15], v[14:15], 2.0, -v[18:19]
	v_mul_f64 v[100:101], v[20:21], s[0:1]
	v_add_f64 v[111:112], v[18:19], v[64:65]
	v_fma_f64 v[46:47], v[46:47], 2.0, -v[64:65]
	v_fma_f64 v[42:43], v[42:43], 2.0, -v[22:23]
	v_fma_f64 v[62:63], v[26:27], s[0:1], v[62:63]
	v_fma_f64 v[26:27], v[66:67], s[16:17], v[92:93]
	;; [unrolled: 1-line block ×4, first 2 shown]
	v_fma_f64 v[68:69], v[68:69], 2.0, -v[48:49]
	v_fma_f64 v[54:55], v[66:67], s[0:1], v[72:73]
	v_add_f64 v[22:23], v[48:49], -v[22:23]
	v_fma_f64 v[98:99], v[78:79], 2.0, -v[96:97]
	v_fma_f64 v[16:17], v[16:17], 2.0, -v[94:95]
	v_add_f64 v[86:87], v[12:13], -v[86:87]
	v_fma_f64 v[18:19], v[18:19], 2.0, -v[111:112]
	v_add_f64 v[64:65], v[14:15], -v[42:43]
	v_fma_f64 v[72:73], v[80:81], 2.0, -v[62:63]
	v_fma_f64 v[76:77], v[76:77], s[16:17], v[26:27]
	v_fma_f64 v[26:27], v[111:112], s[0:1], v[94:95]
	v_fma_f64 v[42:43], v[90:91], 2.0, -v[70:71]
	v_fma_f64 v[80:81], v[50:51], 2.0, -v[74:75]
	v_add_f64 v[78:79], v[68:69], -v[46:47]
	v_fma_f64 v[66:67], v[10:11], 2.0, -v[54:55]
	v_fma_f64 v[46:47], v[62:63], s[14:15], v[96:97]
	v_fma_f64 v[10:11], v[48:49], 2.0, -v[22:23]
	v_fma_f64 v[90:91], v[54:55], s[6:7], v[70:71]
	;; [unrolled: 2-line block ×5, first 2 shown]
	v_fma_f64 v[92:93], v[66:67], s[4:5], v[42:43]
	v_fma_f64 v[26:27], v[74:75], s[6:7], v[46:47]
	v_add_f64 v[46:47], v[86:87], v[78:79]
	v_fma_f64 v[115:116], v[76:77], s[14:15], v[90:91]
	v_mov_b32_e32 v90, 0xa0
	v_mul_u32_u24_sdwa v40, v40, v90 dst_sel:DWORD dst_unused:UNUSED_PAD src0_sel:WORD_0 src1_sel:DWORD
	v_fma_f64 v[48:49], v[10:11], s[0:1], v[48:49]
	v_add_f64 v[14:15], v[12:13], -v[14:15]
	v_or_b32_sdwa v90, v40, v41 dst_sel:DWORD dst_unused:UNUSED_PAD src0_sel:DWORD src1_sel:BYTE_0
	v_fma_f64 v[50:51], v[80:81], s[14:15], v[50:51]
	v_fma_f64 v[40:41], v[94:95], 2.0, -v[113:114]
	v_mul_f64 v[94:95], v[44:45], s[0:1]
	v_lshl_add_u32 v110, v90, 3, 0
	v_mul_f64 v[90:91], v[10:11], s[0:1]
	v_fma_f64 v[117:118], v[82:83], s[6:7], v[92:93]
	v_fma_f64 v[119:120], v[96:97], 2.0, -v[26:27]
	v_fma_f64 v[121:122], v[86:87], 2.0, -v[46:47]
	;; [unrolled: 1-line block ×3, first 2 shown]
	v_mul_f64 v[96:97], v[84:85], s[0:1]
	v_mul_f64 v[92:93], v[22:23], s[0:1]
	;; [unrolled: 1-line block ×4, first 2 shown]
	v_fma_f64 v[16:17], v[16:17], 2.0, -v[48:49]
	v_fma_f64 v[12:13], v[12:13], 2.0, -v[14:15]
	;; [unrolled: 1-line block ×3, first 2 shown]
	v_mul_f64 v[98:99], v[24:25], s[0:1]
	v_cmp_gt_u32_e64 s0, 30, v126
	v_fma_f64 v[42:43], v[42:43], 2.0, -v[117:118]
	ds_write2_b64 v110, v[113:114], v[26:27] offset0:140 offset1:150
	ds_write2_b64 v110, v[40:41], v[119:120] offset0:60 offset1:70
	;; [unrolled: 1-line block ×7, first 2 shown]
	ds_write2_b64 v110, v[12:13], v[42:43] offset1:10
	s_waitcnt lgkmcnt(0)
	s_barrier
	buffer_gl0_inv
	ds_read2_b64 v[18:21], v104 offset1:90
	ds_read2_b64 v[10:13], v103 offset0:104 offset1:224
	ds_read2_b64 v[22:25], v109 offset0:64 offset1:154
	;; [unrolled: 1-line block ×6, first 2 shown]
	ds_read_b64 v[70:71], v104 offset:10560
	s_and_saveexec_b32 s1, s0
	s_cbranch_execz .LBB0_19
; %bb.18:
	ds_read_b64 v[26:27], v104 offset:3600
	ds_read_b64 v[0:1], v104 offset:7440
	;; [unrolled: 1-line block ×3, first 2 shown]
.LBB0_19:
	s_or_b32 exec_lo, exec_lo, s1
	v_mul_f64 v[8:9], v[8:9], v[58:59]
	v_fma_f64 v[28:29], v[36:37], 2.0, -v[28:29]
	v_fma_f64 v[32:33], v[32:33], 2.0, -v[34:35]
	s_waitcnt lgkmcnt(0)
	s_barrier
	buffer_gl0_inv
	v_fma_f64 v[8:9], v[60:61], v[56:57], -v[8:9]
	v_fma_f64 v[60:61], v[68:69], 2.0, -v[78:79]
	v_add_f64 v[8:9], v[52:53], -v[8:9]
	v_add_f64 v[30:31], v[8:9], -v[30:31]
	v_fma_f64 v[36:37], v[52:53], 2.0, -v[8:9]
	v_fma_f64 v[8:9], v[8:9], 2.0, -v[30:31]
	v_add_f64 v[28:29], v[36:37], -v[28:29]
	v_add_f64 v[52:53], v[30:31], v[98:99]
	v_add_f64 v[56:57], v[8:9], -v[100:101]
	v_add_f64 v[38:39], v[28:29], -v[38:39]
	;; [unrolled: 1-line block ×3, first 2 shown]
	v_fma_f64 v[34:35], v[36:37], 2.0, -v[28:29]
	v_add_f64 v[36:37], v[56:57], -v[94:95]
	v_fma_f64 v[28:29], v[28:29], 2.0, -v[38:39]
	v_fma_f64 v[30:31], v[30:31], 2.0, -v[52:53]
	v_add_f64 v[32:33], v[34:35], -v[32:33]
	v_add_f64 v[56:57], v[38:39], v[92:93]
	v_fma_f64 v[58:59], v[74:75], s[14:15], v[52:53]
	v_fma_f64 v[8:9], v[8:9], 2.0, -v[36:37]
	v_add_f64 v[74:75], v[28:29], -v[90:91]
	v_fma_f64 v[78:79], v[80:81], s[10:11], v[30:31]
	v_fma_f64 v[76:77], v[76:77], s[6:7], v[36:37]
	v_fma_f64 v[34:35], v[34:35], 2.0, -v[32:33]
	v_add_f64 v[56:57], v[56:57], -v[86:87]
	v_fma_f64 v[68:69], v[62:63], s[10:11], v[58:59]
	v_add_f64 v[58:59], v[32:33], -v[64:65]
	v_fma_f64 v[80:81], v[82:83], s[4:5], v[8:9]
	;; [unrolled: 2-line block ×3, first 2 shown]
	v_fma_f64 v[54:55], v[54:55], s[4:5], v[76:77]
	v_add_f64 v[60:61], v[34:35], -v[60:61]
	v_fma_f64 v[38:39], v[38:39], 2.0, -v[56:57]
	v_fma_f64 v[52:53], v[52:53], 2.0, -v[68:69]
	;; [unrolled: 1-line block ×3, first 2 shown]
	v_add_nc_u32_e32 v72, 0x800, v104
	v_add_nc_u32_e32 v73, 0x1000, v104
	;; [unrolled: 1-line block ×5, first 2 shown]
	v_fma_f64 v[66:67], v[66:67], s[10:11], v[80:81]
	v_fma_f64 v[28:29], v[28:29], 2.0, -v[62:63]
	v_fma_f64 v[30:31], v[30:31], 2.0, -v[64:65]
	;; [unrolled: 1-line block ×5, first 2 shown]
	ds_write2_b64 v110, v[56:57], v[68:69] offset0:140 offset1:150
	ds_write2_b64 v110, v[38:39], v[52:53] offset0:60 offset1:70
	ds_write2_b64 v110, v[62:63], v[64:65] offset0:100 offset1:110
	ds_write2_b64 v110, v[58:59], v[54:55] offset0:120 offset1:130
	ds_write2_b64 v110, v[28:29], v[30:31] offset0:20 offset1:30
	ds_write2_b64 v110, v[32:33], v[36:37] offset0:40 offset1:50
	ds_write2_b64 v110, v[60:61], v[66:67] offset0:80 offset1:90
	ds_write2_b64 v110, v[34:35], v[8:9] offset1:10
	s_waitcnt lgkmcnt(0)
	s_barrier
	buffer_gl0_inv
	ds_read2_b64 v[32:35], v104 offset1:90
	ds_read2_b64 v[28:31], v72 offset0:104 offset1:224
	ds_read2_b64 v[60:63], v109 offset0:64 offset1:154
	;; [unrolled: 1-line block ×6, first 2 shown]
	ds_read_b64 v[8:9], v104 offset:10560
	s_and_saveexec_b32 s1, s0
	s_cbranch_execz .LBB0_21
; %bb.20:
	ds_read_b64 v[68:69], v104 offset:3600
	ds_read_b64 v[4:5], v104 offset:7440
	;; [unrolled: 1-line block ×3, first 2 shown]
.LBB0_21:
	s_or_b32 exec_lo, exec_lo, s1
	v_add_nc_u32_e32 v72, 0xffffffba, v126
	v_cmp_gt_u32_e64 s1, 0x46, v126
	v_mov_b32_e32 v73, 0
	v_add_nc_u32_e32 v110, 0x10e, v126
	v_mov_b32_e32 v80, 0xcccd
	v_add_nc_u32_e32 v111, 0x168, v126
	v_cndmask_b32_e64 v90, v72, v108, s1
	v_mov_b32_e32 v75, v73
	v_lshlrev_b32_e32 v72, 1, v126
	v_mul_u32_u24_sdwa v78, v110, v80 dst_sel:DWORD dst_unused:UNUSED_PAD src0_sel:WORD_0 src1_sel:DWORD
	v_add_nc_u32_e32 v109, 0x1c2, v126
	v_lshlrev_b32_e32 v74, 1, v90
	s_mov_b32 s4, 0xe8584caa
	v_lshlrev_b64 v[76:77], 4, v[72:73]
	v_add_nc_u32_e32 v72, 40, v72
	v_lshrrev_b32_e32 v103, 23, v78
	v_lshlrev_b64 v[74:75], 4, v[74:75]
	s_mov_b32 s5, 0xbfebb67a
	s_mov_b32 s7, 0x3febb67a
	v_lshlrev_b64 v[72:73], 4, v[72:73]
	s_mov_b32 s6, s4
	v_add_co_u32 v79, s1, s8, v74
	v_add_co_ci_u32_e64 v81, s1, s9, v75, s1
	v_add_co_u32 v112, s1, s8, v76
	v_add_co_ci_u32_e64 v113, s1, s9, v77, s1
	;; [unrolled: 2-line block ×4, first 2 shown]
	v_add_co_u32 v78, s1, 0x960, v112
	s_clause 0x1
	global_load_dwordx4 v[91:94], v[74:75], off offset:352
	global_load_dwordx4 v[95:98], v[76:77], off offset:16
	v_mul_lo_u16 v74, 0xa0, v103
	v_add_co_ci_u32_e64 v79, s1, 0, v113, s1
	v_add_co_u32 v75, s1, s8, v72
	v_mul_u32_u24_sdwa v77, v111, v80 dst_sel:DWORD dst_unused:UNUSED_PAD src0_sel:WORD_0 src1_sel:DWORD
	v_add_co_ci_u32_e64 v76, s1, s9, v73, s1
	v_sub_nc_u16 v107, v110, v74
	v_mov_b32_e32 v74, 5
	v_add_co_u32 v72, s1, 0x960, v75
	v_lshrrev_b32_e32 v77, 23, v77
	v_mul_u32_u24_sdwa v80, v109, v80 dst_sel:DWORD dst_unused:UNUSED_PAD src0_sel:WORD_0 src1_sel:DWORD
	v_add_co_ci_u32_e64 v73, s1, 0, v76, s1
	v_lshlrev_b32_sdwa v81, v74, v107 dst_sel:DWORD dst_unused:UNUSED_PAD src0_sel:DWORD src1_sel:WORD_0
	v_add_co_u32 v74, s1, 0x800, v75
	v_add_co_ci_u32_e64 v75, s1, 0, v76, s1
	v_mul_lo_u16 v76, 0xa0, v77
	v_lshrrev_b32_e32 v77, 23, v80
	v_add_co_u32 v80, s1, s8, v81
	v_add_co_ci_u32_e64 v81, null, s9, 0, s1
	v_sub_nc_u16 v82, v111, v76
	v_mul_lo_u16 v83, 0xa0, v77
	v_add_co_u32 v76, s1, 0x960, v80
	v_add_co_ci_u32_e64 v77, s1, 0, v81, s1
	v_and_b32_e32 v159, 0xffff, v82
	v_sub_nc_u16 v82, v109, v83
	v_add_co_u32 v80, s1, 0x800, v80
	s_clause 0x2
	global_load_dwordx4 v[99:102], v[74:75], off offset:352
	global_load_dwordx4 v[114:117], v[72:73], off offset:16
	;; [unrolled: 1-line block ×3, first 2 shown]
	v_add_co_ci_u32_e64 v81, s1, 0, v81, s1
	v_and_b32_e32 v160, 0xffff, v82
	v_lshlrev_b32_e32 v82, 5, v159
	v_mul_u32_u24_e32 v103, 0xf00, v103
	v_lshlrev_b32_e32 v72, 5, v160
	v_add_co_u32 v76, s1, s8, v82
	v_add_co_ci_u32_e64 v77, null, s9, 0, s1
	v_add_co_u32 v82, s1, s8, v72
	v_add_co_ci_u32_e64 v83, null, s9, 0, s1
	v_add_co_u32 v72, s1, 0x800, v112
	v_add_co_ci_u32_e64 v73, s1, 0, v113, s1
	v_add_co_u32 v74, s1, 0x800, v76
	v_add_co_ci_u32_e64 v75, s1, 0, v77, s1
	s_clause 0x1
	global_load_dwordx4 v[122:125], v[78:79], off offset:16
	global_load_dwordx4 v[127:130], v[72:73], off offset:352
	v_add_co_u32 v72, s1, 0x800, v82
	v_add_co_ci_u32_e64 v73, s1, 0, v83, s1
	v_add_co_u32 v76, s1, 0x960, v76
	v_add_co_ci_u32_e64 v77, s1, 0, v77, s1
	;; [unrolled: 2-line block ×3, first 2 shown]
	s_clause 0x4
	global_load_dwordx4 v[131:134], v[80:81], off offset:352
	global_load_dwordx4 v[135:138], v[74:75], off offset:352
	;; [unrolled: 1-line block ×5, first 2 shown]
	v_cmp_lt_u32_e64 s1, 0x45, v126
	s_waitcnt vmcnt(0) lgkmcnt(0)
	s_barrier
	buffer_gl0_inv
	v_mul_f64 v[82:83], v[64:65], v[93:94]
	v_mul_f64 v[84:85], v[62:63], v[97:98]
	;; [unrolled: 1-line block ×4, first 2 shown]
	v_fma_f64 v[84:85], v[24:25], v[95:96], v[84:85]
	v_mul_f64 v[78:79], v[66:67], v[101:102]
	v_mul_f64 v[80:81], v[56:57], v[116:117]
	;; [unrolled: 1-line block ×4, first 2 shown]
	v_fma_f64 v[46:47], v[46:47], v[99:100], v[78:79]
	v_fma_f64 v[48:49], v[48:49], v[114:115], v[80:81]
	;; [unrolled: 1-line block ×3, first 2 shown]
	v_fma_f64 v[44:45], v[62:63], v[95:96], -v[97:98]
	v_mul_f64 v[72:73], v[60:61], v[124:125]
	v_mul_f64 v[74:75], v[30:31], v[129:130]
	;; [unrolled: 1-line block ×12, first 2 shown]
	v_add_f64 v[95:96], v[20:21], v[80:81]
	v_fma_f64 v[72:73], v[22:23], v[122:123], v[72:73]
	v_fma_f64 v[76:77], v[12:13], v[127:128], v[74:75]
	v_mul_f64 v[12:13], v[42:43], v[137:138]
	v_mul_f64 v[22:23], v[0:1], v[141:142]
	;; [unrolled: 1-line block ×4, first 2 shown]
	v_fma_f64 v[50:51], v[50:51], v[118:119], v[124:125]
	v_fma_f64 v[86:87], v[30:31], v[127:128], -v[86:87]
	v_fma_f64 v[30:31], v[60:61], v[122:123], -v[105:106]
	;; [unrolled: 1-line block ×3, first 2 shown]
	v_fma_f64 v[78:79], v[40:41], v[131:132], v[129:130]
	v_fma_f64 v[74:75], v[42:43], v[135:136], v[151:152]
	;; [unrolled: 1-line block ×5, first 2 shown]
	v_fma_f64 v[40:41], v[56:57], v[114:115], -v[116:117]
	v_fma_f64 v[56:57], v[64:65], v[91:92], -v[93:94]
	;; [unrolled: 1-line block ×4, first 2 shown]
	v_add_f64 v[2:3], v[46:47], v[48:49]
	v_add_f64 v[91:92], v[14:15], v[46:47]
	v_lshlrev_b32_e32 v115, 3, v90
	v_mov_b32_e32 v106, 3
	v_add_f64 v[0:1], v[76:77], v[72:73]
	v_fma_f64 v[64:65], v[54:55], v[135:136], -v[12:13]
	v_fma_f64 v[66:67], v[4:5], v[139:140], -v[22:23]
	;; [unrolled: 1-line block ×4, first 2 shown]
	v_add_f64 v[12:13], v[80:81], v[84:85]
	v_add_f64 v[22:23], v[18:19], v[76:77]
	v_add_f64 v[24:25], v[86:87], -v[30:31]
	v_cndmask_b32_e64 v114, 0, 0xf00, s1
	v_add_f64 v[4:5], v[78:79], v[50:51]
	v_add_f64 v[97:98], v[16:17], v[78:79]
	;; [unrolled: 1-line block ×5, first 2 shown]
	v_add_f64 v[93:94], v[60:61], -v[40:41]
	v_add_f64 v[101:102], v[26:27], v[42:43]
	v_lshl_add_u32 v105, v126, 3, 0
	v_add3_u32 v115, 0, v114, v115
	v_fma_f64 v[2:3], v[2:3], -0.5, v[14:15]
	v_add_f64 v[14:15], v[62:63], -v[52:53]
	v_fma_f64 v[0:1], v[0:1], -0.5, v[18:19]
	v_add_f64 v[18:19], v[56:57], -v[44:45]
	v_fma_f64 v[12:13], v[12:13], -0.5, v[20:21]
	v_add_f64 v[20:21], v[22:23], v[72:73]
	v_add_f64 v[22:23], v[91:92], v[48:49]
	v_fma_f64 v[4:5], v[4:5], -0.5, v[16:17]
	v_add_f64 v[16:17], v[64:65], -v[54:55]
	v_fma_f64 v[6:7], v[6:7], -0.5, v[10:11]
	v_add_f64 v[10:11], v[66:67], -v[58:59]
	v_fma_f64 v[8:9], v[8:9], -0.5, v[26:27]
	v_add_f64 v[26:27], v[95:96], v[84:85]
	v_add_f64 v[96:97], v[97:98], v[50:51]
	;; [unrolled: 1-line block ×3, first 2 shown]
	v_fma_f64 v[116:117], v[24:25], s[4:5], v[0:1]
	v_fma_f64 v[0:1], v[24:25], s[6:7], v[0:1]
	v_add_f64 v[24:25], v[99:100], v[82:83]
	v_fma_f64 v[98:99], v[93:94], s[4:5], v[2:3]
	v_fma_f64 v[2:3], v[93:94], s[6:7], v[2:3]
	;; [unrolled: 1-line block ×10, first 2 shown]
	v_lshlrev_b32_sdwa v8, v106, v107 dst_sel:DWORD dst_unused:UNUSED_PAD src0_sel:DWORD src1_sel:WORD_0
	v_lshl_add_u32 v107, v159, 3, 0
	v_lshl_add_u32 v106, v160, 3, 0
	v_add_nc_u32_e32 v9, 0xe00, v105
	v_add3_u32 v114, 0, v103, v8
	v_add_nc_u32_e32 v8, 0x1c00, v107
	ds_write2_b64 v104, v[20:21], v[116:117] offset1:160
	ds_write_b64 v104, v[0:1] offset:2560
	ds_write2_b64 v115, v[26:27], v[100:101] offset1:160
	ds_write_b64 v115, v[12:13] offset:2560
	ds_write2_b64 v9, v[22:23], v[98:99] offset0:52 offset1:212
	ds_write_b64 v105, v[2:3] offset:6560
	ds_write2_b64 v114, v[96:97], v[18:19] offset1:160
	ds_write_b64 v114, v[4:5] offset:2560
	ds_write2_b64 v8, v[24:25], v[14:15] offset0:64 offset1:224
	ds_write_b64 v107, v[6:7] offset:10240
	s_and_saveexec_b32 s1, s0
	s_cbranch_execz .LBB0_23
; %bb.22:
	v_add_nc_u32_e32 v0, 0x1c00, v106
	ds_write2_b64 v0, v[90:91], v[92:93] offset0:64 offset1:224
	ds_write_b64 v106, v[94:95] offset:10240
.LBB0_23:
	s_or_b32 exec_lo, exec_lo, s1
	v_add_nc_u32_e32 v8, 0x1c00, v104
	v_add_nc_u32_e32 v0, 0x800, v104
	;; [unrolled: 1-line block ×6, first 2 shown]
	s_waitcnt lgkmcnt(0)
	s_barrier
	buffer_gl0_inv
	ds_read2_b64 v[4:7], v104 offset1:90
	ds_read2_b64 v[0:3], v0 offset0:104 offset1:224
	ds_read2_b64 v[12:15], v8 offset0:64 offset1:154
	;; [unrolled: 1-line block ×6, first 2 shown]
	ds_read_b64 v[102:103], v104 offset:10560
	s_and_saveexec_b32 s1, s0
	s_cbranch_execz .LBB0_25
; %bb.24:
	ds_read_b64 v[90:91], v104 offset:3600
	ds_read_b64 v[92:93], v104 offset:7440
	;; [unrolled: 1-line block ×3, first 2 shown]
.LBB0_25:
	s_or_b32 exec_lo, exec_lo, s1
	v_add_f64 v[96:97], v[86:87], v[30:31]
	v_add_f64 v[120:121], v[66:67], v[58:59]
	;; [unrolled: 1-line block ×7, first 2 shown]
	v_add_f64 v[72:73], v[76:77], -v[72:73]
	v_add_f64 v[56:57], v[34:35], v[56:57]
	v_add_f64 v[66:67], v[68:69], v[66:67]
	v_add_f64 v[42:43], v[42:43], -v[70:71]
	v_add_f64 v[76:77], v[80:81], -v[84:85]
	v_add_f64 v[60:61], v[36:37], v[60:61]
	v_add_f64 v[46:47], v[46:47], -v[48:49]
	v_add_f64 v[62:63], v[38:39], v[62:63]
	;; [unrolled: 2-line block ×3, first 2 shown]
	v_add_f64 v[50:51], v[74:75], -v[82:83]
	s_mov_b32 s4, 0xe8584caa
	s_mov_b32 s5, 0x3febb67a
	;; [unrolled: 1-line block ×4, first 2 shown]
	v_fma_f64 v[32:33], v[96:97], -0.5, v[32:33]
	v_fma_f64 v[68:69], v[120:121], -0.5, v[68:69]
	;; [unrolled: 1-line block ×6, first 2 shown]
	v_add_f64 v[30:31], v[86:87], v[30:31]
	s_waitcnt lgkmcnt(0)
	v_add_f64 v[44:45], v[56:57], v[44:45]
	v_add_f64 v[96:97], v[66:67], v[58:59]
	s_barrier
	buffer_gl0_inv
	v_add_f64 v[40:41], v[60:61], v[40:41]
	v_add_f64 v[52:53], v[62:63], v[52:53]
	;; [unrolled: 1-line block ×3, first 2 shown]
	v_fma_f64 v[56:57], v[72:73], s[4:5], v[32:33]
	v_fma_f64 v[98:99], v[42:43], s[4:5], v[68:69]
	;; [unrolled: 1-line block ×12, first 2 shown]
	v_add_nc_u32_e32 v42, 0xe00, v105
	v_add_nc_u32_e32 v43, 0x1c00, v107
	ds_write2_b64 v104, v[30:31], v[56:57] offset1:160
	ds_write_b64 v104, v[32:33] offset:2560
	ds_write2_b64 v115, v[44:45], v[58:59] offset1:160
	ds_write_b64 v115, v[34:35] offset:2560
	ds_write2_b64 v42, v[40:41], v[60:61] offset0:52 offset1:212
	ds_write_b64 v105, v[36:37] offset:6560
	ds_write2_b64 v114, v[52:53], v[46:47] offset1:160
	ds_write_b64 v114, v[38:39] offset:2560
	ds_write2_b64 v43, v[54:55], v[48:49] offset0:64 offset1:224
	ds_write_b64 v107, v[28:29] offset:10240
	s_and_saveexec_b32 s1, s0
	s_cbranch_execz .LBB0_27
; %bb.26:
	v_add_nc_u32_e32 v28, 0x1c00, v106
	ds_write2_b64 v28, v[96:97], v[98:99] offset0:64 offset1:224
	ds_write_b64 v106, v[100:101] offset:10240
.LBB0_27:
	s_or_b32 exec_lo, exec_lo, s1
	v_add_nc_u32_e32 v36, 0x1c00, v104
	v_add_nc_u32_e32 v32, 0x800, v104
	;; [unrolled: 1-line block ×6, first 2 shown]
	s_waitcnt lgkmcnt(0)
	s_barrier
	buffer_gl0_inv
	ds_read2_b64 v[28:31], v104 offset1:90
	ds_read2_b64 v[32:35], v32 offset0:104 offset1:224
	ds_read2_b64 v[40:43], v36 offset0:64 offset1:154
	;; [unrolled: 1-line block ×6, first 2 shown]
	ds_read_b64 v[106:107], v104 offset:10560
	s_and_saveexec_b32 s1, s0
	s_cbranch_execz .LBB0_29
; %bb.28:
	ds_read_b64 v[96:97], v104 offset:3600
	ds_read_b64 v[98:99], v104 offset:7440
	;; [unrolled: 1-line block ×3, first 2 shown]
.LBB0_29:
	s_or_b32 exec_lo, exec_lo, s1
	s_and_saveexec_b32 s1, vcc_lo
	s_cbranch_execz .LBB0_32
; %bb.30:
	v_lshlrev_b32_e32 v104, 1, v111
	v_mov_b32_e32 v105, 0
	v_add_nc_u32_e32 v114, 0xb4, v126
	v_add_nc_u32_e32 v137, 0x1e0, v126
	;; [unrolled: 1-line block ×3, first 2 shown]
	v_mad_u64_u32 v[123:124], null, s2, v108, 0
	v_lshlrev_b64 v[56:57], 4, v[104:105]
	v_lshlrev_b32_e32 v104, 1, v110
	v_add_nc_u32_e32 v139, 0x23a, v126
	v_add_nc_u32_e32 v140, 0x41a, v126
	v_mul_hi_u32 v125, 0x88888889, v110
	v_mul_hi_u32 v135, 0x88888889, v111
	v_add_co_u32 v60, vcc_lo, s8, v56
	v_add_co_ci_u32_e32 v61, vcc_lo, s9, v57, vcc_lo
	v_lshlrev_b64 v[56:57], 4, v[104:105]
	v_add_co_u32 v58, vcc_lo, 0x1d60, v60
	v_add_co_ci_u32_e32 v59, vcc_lo, 0, v61, vcc_lo
	v_lshlrev_b32_e32 v104, 1, v114
	v_add_co_u32 v62, vcc_lo, s8, v56
	v_add_co_ci_u32_e32 v63, vcc_lo, s9, v57, vcc_lo
	v_add_co_u32 v56, vcc_lo, 0x1800, v60
	v_add_co_ci_u32_e32 v57, vcc_lo, 0, v61, vcc_lo
	v_add_co_u32 v60, vcc_lo, 0x1800, v62
	v_lshlrev_b64 v[74:75], 4, v[104:105]
	v_add_co_ci_u32_e32 v61, vcc_lo, 0, v63, vcc_lo
	v_add_co_u32 v72, vcc_lo, 0x1d60, v62
	v_add_co_ci_u32_e32 v73, vcc_lo, 0, v63, vcc_lo
	v_add_co_u32 v115, vcc_lo, s8, v74
	v_add_co_ci_u32_e32 v116, vcc_lo, s9, v75, vcc_lo
	v_lshlrev_b32_e32 v104, 1, v108
	s_clause 0x3
	global_load_dwordx4 v[68:71], v[56:57], off offset:1376
	global_load_dwordx4 v[64:67], v[58:59], off offset:16
	;; [unrolled: 1-line block ×4, first 2 shown]
	v_add_co_u32 v72, vcc_lo, 0x1d60, v115
	v_add_co_ci_u32_e32 v73, vcc_lo, 0, v116, vcc_lo
	v_lshlrev_b64 v[74:75], 4, v[104:105]
	v_add_co_u32 v76, vcc_lo, 0x1d60, v112
	v_add_co_ci_u32_e32 v77, vcc_lo, 0, v113, vcc_lo
	v_add_co_u32 v78, vcc_lo, 0x1800, v112
	v_add_co_ci_u32_e32 v79, vcc_lo, 0, v113, vcc_lo
	;; [unrolled: 2-line block ×5, first 2 shown]
	v_add_co_u32 v115, vcc_lo, 0x1800, v104
	s_clause 0x1
	global_load_dwordx4 v[80:83], v[78:79], off offset:1376
	global_load_dwordx4 v[84:87], v[76:77], off offset:16
	v_add_co_ci_u32_e32 v116, vcc_lo, 0, v117, vcc_lo
	s_clause 0x3
	global_load_dwordx4 v[76:79], v[74:75], off offset:1376
	global_load_dwordx4 v[72:75], v[72:73], off offset:16
	;; [unrolled: 1-line block ×4, first 2 shown]
	v_mad_u64_u32 v[112:113], null, s2, v126, 0
	v_mad_u64_u32 v[127:128], null, s2, v137, 0
	;; [unrolled: 1-line block ×5, first 2 shown]
	v_mul_hi_u32 v141, 0x88888889, v114
	v_mov_b32_e32 v104, v113
	v_mov_b32_e32 v113, v124
	v_lshrrev_b32_e32 v142, 8, v125
	v_lshrrev_b32_e32 v143, 8, v135
	v_add_co_u32 v88, vcc_lo, s12, v88
	v_mad_u64_u32 v[124:125], null, s3, v126, v[104:105]
	v_mov_b32_e32 v104, v128
	v_mov_b32_e32 v125, v130
	v_mad_u64_u32 v[135:136], null, s3, v108, v[113:114]
	v_mov_b32_e32 v108, v132
	v_mov_b32_e32 v113, v134
	v_lshrrev_b32_e32 v128, 8, v141
	v_mad_u32_u24 v153, 0x3c0, v142, v110
	v_mad_u32_u24 v154, 0x3c0, v143, v111
	v_mad_u64_u32 v[110:111], null, s3, v137, v[104:105]
	v_mad_u64_u32 v[136:137], null, s3, v138, v[125:126]
	;; [unrolled: 1-line block ×4, first 2 shown]
	v_mad_u32_u24 v155, 0x3c0, v128, v114
	v_mad_u64_u32 v[139:140], null, s2, v153, 0
	v_add_nc_u32_e32 v156, 0x1e0, v153
	v_add_nc_u32_e32 v157, 0x3c0, v153
	v_mov_b32_e32 v113, v124
	v_mad_u64_u32 v[141:142], null, s2, v154, 0
	v_add_nc_u32_e32 v158, 0x1e0, v154
	v_add_nc_u32_e32 v159, 0x3c0, v154
	v_mad_u64_u32 v[143:144], null, s2, v155, 0
	v_mad_u64_u32 v[145:146], null, s2, v156, 0
	;; [unrolled: 1-line block ×3, first 2 shown]
	v_lshlrev_b64 v[111:112], 4, v[112:113]
	v_mad_u64_u32 v[149:150], null, s2, v158, 0
	v_mad_u64_u32 v[151:152], null, s2, v159, 0
	v_mov_b32_e32 v104, v140
	v_mov_b32_e32 v108, v142
	v_add_co_ci_u32_e32 v89, vcc_lo, s13, v89, vcc_lo
	v_mov_b32_e32 v128, v110
	v_mov_b32_e32 v110, v144
	v_add_co_u32 v111, vcc_lo, v88, v111
	v_mov_b32_e32 v132, v137
	v_mov_b32_e32 v134, v138
	v_mad_u64_u32 v[137:138], null, s3, v153, v[104:105]
	v_mov_b32_e32 v104, v146
	v_mov_b32_e32 v125, v148
	v_add_nc_u32_e32 v161, 0x3c0, v155
	v_mad_u64_u32 v[153:154], null, s3, v154, v[108:109]
	v_mov_b32_e32 v108, v150
	v_mov_b32_e32 v138, v152
	v_add_nc_u32_e32 v160, 0x1e0, v155
	v_mad_u64_u32 v[154:155], null, s3, v155, v[110:111]
	v_mad_u64_u32 v[155:156], null, s3, v156, v[104:105]
	v_mad_u64_u32 v[156:157], null, s3, v157, v[125:126]
	v_mov_b32_e32 v124, v135
	v_mov_b32_e32 v130, v136
	v_mad_u64_u32 v[135:136], null, s2, v161, 0
	v_mad_u64_u32 v[157:158], null, s3, v158, v[108:109]
	v_mad_u64_u32 v[158:159], null, s3, v159, v[138:139]
	v_lshlrev_b64 v[113:114], 4, v[123:124]
	v_mad_u64_u32 v[123:124], null, s2, v160, 0
	v_mov_b32_e32 v108, v136
	v_mov_b32_e32 v140, v137
	;; [unrolled: 1-line block ×8, first 2 shown]
	v_mad_u64_u32 v[136:137], null, s3, v161, v[108:109]
	v_lshlrev_b64 v[137:138], 4, v[139:140]
	v_lshlrev_b64 v[139:140], 4, v[141:142]
	;; [unrolled: 1-line block ×7, first 2 shown]
	v_mov_b32_e32 v104, v124
	v_lshlrev_b64 v[127:128], 4, v[127:128]
	v_add_co_ci_u32_e32 v112, vcc_lo, v89, v112, vcc_lo
	v_lshlrev_b64 v[129:130], 4, v[129:130]
	v_mad_u64_u32 v[124:125], null, s3, v160, v[104:105]
	v_add_co_u32 v113, vcc_lo, v88, v113
	v_add_co_ci_u32_e32 v114, vcc_lo, v89, v114, vcc_lo
	v_lshlrev_b64 v[131:132], 4, v[131:132]
	v_add_co_u32 v127, vcc_lo, v88, v127
	v_add_co_ci_u32_e32 v128, vcc_lo, v89, v128, vcc_lo
	v_lshlrev_b64 v[133:134], 4, v[133:134]
	v_add_co_u32 v129, vcc_lo, v88, v129
	v_add_co_ci_u32_e32 v130, vcc_lo, v89, v130, vcc_lo
	v_add_co_u32 v131, vcc_lo, v88, v131
	v_add_co_ci_u32_e32 v132, vcc_lo, v89, v132, vcc_lo
	;; [unrolled: 2-line block ×3, first 2 shown]
	v_add_co_u32 v137, vcc_lo, v88, v137
	s_mov_b32 s4, 0xe8584caa
	v_add_co_ci_u32_e32 v138, vcc_lo, v89, v138, vcc_lo
	s_mov_b32 s5, 0xbfebb67a
	s_mov_b32 s7, 0x3febb67a
	;; [unrolled: 1-line block ×3, first 2 shown]
	v_add_co_u32 v139, vcc_lo, v88, v139
	v_add_co_ci_u32_e32 v140, vcc_lo, v89, v140, vcc_lo
	v_add_co_u32 v141, vcc_lo, v88, v141
	v_add_co_ci_u32_e32 v142, vcc_lo, v89, v142, vcc_lo
	;; [unrolled: 2-line block ×4, first 2 shown]
	v_lshlrev_b64 v[123:124], 4, v[123:124]
	v_add_co_u32 v147, vcc_lo, v88, v147
	v_add_co_ci_u32_e32 v148, vcc_lo, v89, v148, vcc_lo
	v_lshlrev_b64 v[135:136], 4, v[135:136]
	s_waitcnt vmcnt(9)
	v_mul_f64 v[155:156], v[26:27], v[70:71]
	s_waitcnt lgkmcnt(1)
	v_mul_f64 v[70:71], v[54:55], v[70:71]
	s_waitcnt vmcnt(8)
	v_mul_f64 v[157:158], v[102:103], v[66:67]
	s_waitcnt vmcnt(6)
	v_mul_f64 v[161:162], v[22:23], v[58:59]
	v_mul_f64 v[58:59], v[50:51], v[58:59]
	;; [unrolled: 1-line block ×3, first 2 shown]
	s_waitcnt lgkmcnt(0)
	v_mul_f64 v[66:67], v[106:107], v[66:67]
	v_mul_f64 v[62:63], v[52:53], v[62:63]
	v_fma_f64 v[54:55], v[54:55], v[68:69], -v[155:156]
	v_fma_f64 v[26:27], v[26:27], v[68:69], v[70:71]
	v_fma_f64 v[68:69], v[106:107], v[64:65], -v[157:158]
	v_fma_f64 v[50:51], v[50:51], v[56:57], -v[161:162]
	v_fma_f64 v[22:23], v[22:23], v[56:57], v[58:59]
	v_fma_f64 v[52:53], v[52:53], v[60:61], -v[159:160]
	v_fma_f64 v[64:65], v[102:103], v[64:65], v[66:67]
	v_fma_f64 v[24:25], v[24:25], v[60:61], v[62:63]
	s_waitcnt vmcnt(5)
	v_mul_f64 v[151:152], v[2:3], v[82:83]
	v_mul_f64 v[82:83], v[34:35], v[82:83]
	s_waitcnt vmcnt(4)
	v_mul_f64 v[153:154], v[12:13], v[86:87]
	v_mul_f64 v[86:87], v[40:41], v[86:87]
	s_waitcnt vmcnt(3)
	v_mul_f64 v[163:164], v[18:19], v[78:79]
	s_waitcnt vmcnt(2)
	;; [unrolled: 2-line block ×4, first 2 shown]
	v_mul_f64 v[169:170], v[14:15], v[121:122]
	v_mul_f64 v[117:118], v[44:45], v[117:118]
	;; [unrolled: 1-line block ×5, first 2 shown]
	v_add_co_u32 v60, vcc_lo, v88, v149
	v_add_co_ci_u32_e32 v61, vcc_lo, v89, v150, vcc_lo
	v_add_f64 v[102:103], v[38:39], v[52:53]
	v_add_f64 v[106:107], v[52:53], -v[50:51]
	v_fma_f64 v[34:35], v[34:35], v[80:81], -v[151:152]
	v_fma_f64 v[2:3], v[2:3], v[80:81], v[82:83]
	v_fma_f64 v[40:41], v[40:41], v[84:85], -v[153:154]
	v_fma_f64 v[12:13], v[12:13], v[84:85], v[86:87]
	v_fma_f64 v[46:47], v[46:47], v[76:77], -v[163:164]
	v_fma_f64 v[48:49], v[48:49], v[72:73], -v[165:166]
	;; [unrolled: 1-line block ×4, first 2 shown]
	v_fma_f64 v[16:17], v[16:17], v[115:116], v[117:118]
	v_fma_f64 v[56:57], v[14:15], v[119:120], v[121:122]
	;; [unrolled: 1-line block ×4, first 2 shown]
	v_add_f64 v[74:75], v[32:33], v[54:55]
	v_add_f64 v[78:79], v[52:53], v[50:51]
	v_add_f64 v[72:73], v[26:27], -v[64:65]
	v_add_f64 v[76:77], v[54:55], -v[68:69]
	v_add_f64 v[115:116], v[24:25], v[22:23]
	v_add_f64 v[84:85], v[24:25], -v[22:23]
	v_add_f64 v[24:25], v[10:11], v[24:25]
	v_add_f64 v[58:59], v[28:29], v[34:35]
	;; [unrolled: 1-line block ×5, first 2 shown]
	v_add_f64 v[70:71], v[2:3], -v[12:13]
	v_add_f64 v[80:81], v[46:47], v[48:49]
	v_add_f64 v[2:3], v[54:55], v[68:69]
	v_add_f64 v[82:83], v[44:45], v[42:43]
	v_add_f64 v[54:55], v[26:27], v[64:65]
	v_add_f64 v[86:87], v[16:17], v[56:57]
	v_add_f64 v[26:27], v[0:1], v[26:27]
	v_add_f64 v[52:53], v[18:19], v[20:21]
	v_add_f64 v[34:35], v[34:35], -v[40:41]
	v_add_f64 v[117:118], v[30:31], v[44:45]
	v_add_f64 v[119:120], v[6:7], v[16:17]
	v_add_f64 v[121:122], v[16:17], -v[56:57]
	v_add_f64 v[44:45], v[44:45], -v[42:43]
	v_fma_f64 v[78:79], v[78:79], -0.5, v[38:39]
	v_add_f64 v[12:13], v[66:67], v[12:13]
	v_fma_f64 v[28:29], v[14:15], -0.5, v[28:29]
	v_add_f64 v[14:15], v[58:59], v[40:41]
	;; [unrolled: 2-line block ×3, first 2 shown]
	v_fma_f64 v[36:37], v[80:81], -0.5, v[36:37]
	v_fma_f64 v[80:81], v[82:83], -0.5, v[30:31]
	v_add_f64 v[66:67], v[46:47], -v[48:49]
	v_fma_f64 v[82:83], v[86:87], -0.5, v[6:7]
	v_add_f64 v[46:47], v[8:9], v[18:19]
	v_add_f64 v[58:59], v[18:19], -v[20:21]
	v_fma_f64 v[32:33], v[2:3], -0.5, v[32:33]
	v_add_f64 v[2:3], v[74:75], v[68:69]
	v_fma_f64 v[74:75], v[52:53], -0.5, v[8:9]
	v_fma_f64 v[68:69], v[54:55], -0.5, v[0:1]
	v_add_f64 v[0:1], v[26:27], v[64:65]
	v_fma_f64 v[64:65], v[115:116], -0.5, v[10:11]
	v_add_f64 v[4:5], v[24:25], v[22:23]
	v_add_f64 v[26:27], v[117:118], v[42:43]
	;; [unrolled: 1-line block ×4, first 2 shown]
	v_fma_f64 v[38:39], v[84:85], s[4:5], v[78:79]
	v_fma_f64 v[18:19], v[70:71], s[6:7], v[28:29]
	;; [unrolled: 1-line block ×5, first 2 shown]
	v_add_f64 v[22:23], v[62:63], v[48:49]
	v_fma_f64 v[50:51], v[121:122], s[6:7], v[80:81]
	v_add_co_u32 v62, vcc_lo, v88, v123
	v_fma_f64 v[48:49], v[44:45], s[4:5], v[82:83]
	v_add_f64 v[20:21], v[46:47], v[20:21]
	v_fma_f64 v[46:47], v[121:122], s[4:5], v[80:81]
	v_fma_f64 v[44:45], v[44:45], s[6:7], v[82:83]
	;; [unrolled: 1-line block ×13, first 2 shown]
	v_add_co_ci_u32_e32 v63, vcc_lo, v89, v124, vcc_lo
	v_add_co_u32 v64, vcc_lo, v88, v135
	v_add_co_ci_u32_e32 v65, vcc_lo, v89, v136, vcc_lo
	global_store_dwordx4 v[111:112], v[12:15], off
	global_store_dwordx4 v[127:128], v[16:19], off
	;; [unrolled: 1-line block ×15, first 2 shown]
	s_and_b32 exec_lo, exec_lo, s0
	s_cbranch_execz .LBB0_32
; %bb.31:
	v_subrev_nc_u32_e32 v0, 30, v126
	v_add_nc_u32_e32 v30, 0x3a2, v126
	v_add_nc_u32_e32 v31, 0x582, v126
	v_mad_u64_u32 v[12:13], null, s2, v109, 0
	v_cndmask_b32_e64 v0, v0, v109, s0
	v_mad_u64_u32 v[14:15], null, s2, v30, 0
	v_mad_u64_u32 v[16:17], null, s2, v31, 0
	v_lshlrev_b32_e32 v104, 1, v0
	v_lshlrev_b64 v[0:1], 4, v[104:105]
	v_add_co_u32 v2, vcc_lo, s8, v0
	v_add_co_ci_u32_e32 v3, vcc_lo, s9, v1, vcc_lo
	v_add_co_u32 v0, vcc_lo, 0x1800, v2
	v_add_co_ci_u32_e32 v1, vcc_lo, 0, v3, vcc_lo
	;; [unrolled: 2-line block ×3, first 2 shown]
	s_clause 0x1
	global_load_dwordx4 v[0:3], v[0:1], off offset:1376
	global_load_dwordx4 v[4:7], v[4:5], off offset:16
	s_waitcnt vmcnt(1)
	v_mul_f64 v[8:9], v[98:99], v[2:3]
	s_waitcnt vmcnt(0)
	v_mul_f64 v[10:11], v[100:101], v[6:7]
	v_mul_f64 v[2:3], v[92:93], v[2:3]
	;; [unrolled: 1-line block ×3, first 2 shown]
	v_fma_f64 v[8:9], v[92:93], v[0:1], v[8:9]
	v_fma_f64 v[10:11], v[94:95], v[4:5], v[10:11]
	v_fma_f64 v[0:1], v[98:99], v[0:1], -v[2:3]
	v_fma_f64 v[2:3], v[100:101], v[4:5], -v[6:7]
	v_add_f64 v[18:19], v[90:91], v[8:9]
	v_add_f64 v[4:5], v[8:9], v[10:11]
	;; [unrolled: 1-line block ×4, first 2 shown]
	v_add_f64 v[20:21], v[0:1], -v[2:3]
	v_add_f64 v[26:27], v[8:9], -v[10:11]
	v_mov_b32_e32 v0, v15
	v_mov_b32_e32 v1, v17
	v_fma_f64 v[24:25], v[4:5], -0.5, v[90:91]
	v_mad_u64_u32 v[4:5], null, s3, v109, v[13:14]
	v_fma_f64 v[28:29], v[6:7], -0.5, v[96:97]
	v_mad_u64_u32 v[5:6], null, s3, v30, v[0:1]
	v_mad_u64_u32 v[0:1], null, s3, v31, v[1:2]
	v_add_f64 v[2:3], v[22:23], v[2:3]
	v_mov_b32_e32 v13, v4
	v_mov_b32_e32 v15, v5
	;; [unrolled: 1-line block ×3, first 2 shown]
	v_add_f64 v[0:1], v[18:19], v[10:11]
	v_lshlrev_b64 v[12:13], 4, v[12:13]
	v_lshlrev_b64 v[14:15], 4, v[14:15]
	;; [unrolled: 1-line block ×3, first 2 shown]
	v_add_co_u32 v12, vcc_lo, v88, v12
	v_fma_f64 v[4:5], v[20:21], s[4:5], v[24:25]
	v_fma_f64 v[6:7], v[26:27], s[6:7], v[28:29]
	;; [unrolled: 1-line block ×4, first 2 shown]
	v_add_co_ci_u32_e32 v13, vcc_lo, v89, v13, vcc_lo
	v_add_co_u32 v14, vcc_lo, v88, v14
	v_add_co_ci_u32_e32 v15, vcc_lo, v89, v15, vcc_lo
	v_add_co_u32 v16, vcc_lo, v88, v16
	v_add_co_ci_u32_e32 v17, vcc_lo, v89, v17, vcc_lo
	global_store_dwordx4 v[12:13], v[0:3], off
	global_store_dwordx4 v[14:15], v[4:7], off
	;; [unrolled: 1-line block ×3, first 2 shown]
.LBB0_32:
	s_endpgm
	.section	.rodata,"a",@progbits
	.p2align	6, 0x0
	.amdhsa_kernel fft_rtc_back_len1440_factors_10_16_3_3_wgs_90_tpt_90_halfLds_dp_ip_CI_sbrr_dirReg
		.amdhsa_group_segment_fixed_size 0
		.amdhsa_private_segment_fixed_size 0
		.amdhsa_kernarg_size 88
		.amdhsa_user_sgpr_count 6
		.amdhsa_user_sgpr_private_segment_buffer 1
		.amdhsa_user_sgpr_dispatch_ptr 0
		.amdhsa_user_sgpr_queue_ptr 0
		.amdhsa_user_sgpr_kernarg_segment_ptr 1
		.amdhsa_user_sgpr_dispatch_id 0
		.amdhsa_user_sgpr_flat_scratch_init 0
		.amdhsa_user_sgpr_private_segment_size 0
		.amdhsa_wavefront_size32 1
		.amdhsa_uses_dynamic_stack 0
		.amdhsa_system_sgpr_private_segment_wavefront_offset 0
		.amdhsa_system_sgpr_workgroup_id_x 1
		.amdhsa_system_sgpr_workgroup_id_y 0
		.amdhsa_system_sgpr_workgroup_id_z 0
		.amdhsa_system_sgpr_workgroup_info 0
		.amdhsa_system_vgpr_workitem_id 0
		.amdhsa_next_free_vgpr 171
		.amdhsa_next_free_sgpr 24
		.amdhsa_reserve_vcc 1
		.amdhsa_reserve_flat_scratch 0
		.amdhsa_float_round_mode_32 0
		.amdhsa_float_round_mode_16_64 0
		.amdhsa_float_denorm_mode_32 3
		.amdhsa_float_denorm_mode_16_64 3
		.amdhsa_dx10_clamp 1
		.amdhsa_ieee_mode 1
		.amdhsa_fp16_overflow 0
		.amdhsa_workgroup_processor_mode 1
		.amdhsa_memory_ordered 1
		.amdhsa_forward_progress 0
		.amdhsa_shared_vgpr_count 0
		.amdhsa_exception_fp_ieee_invalid_op 0
		.amdhsa_exception_fp_denorm_src 0
		.amdhsa_exception_fp_ieee_div_zero 0
		.amdhsa_exception_fp_ieee_overflow 0
		.amdhsa_exception_fp_ieee_underflow 0
		.amdhsa_exception_fp_ieee_inexact 0
		.amdhsa_exception_int_div_zero 0
	.end_amdhsa_kernel
	.text
.Lfunc_end0:
	.size	fft_rtc_back_len1440_factors_10_16_3_3_wgs_90_tpt_90_halfLds_dp_ip_CI_sbrr_dirReg, .Lfunc_end0-fft_rtc_back_len1440_factors_10_16_3_3_wgs_90_tpt_90_halfLds_dp_ip_CI_sbrr_dirReg
                                        ; -- End function
	.section	.AMDGPU.csdata,"",@progbits
; Kernel info:
; codeLenInByte = 13280
; NumSgprs: 26
; NumVgprs: 171
; ScratchSize: 0
; MemoryBound: 1
; FloatMode: 240
; IeeeMode: 1
; LDSByteSize: 0 bytes/workgroup (compile time only)
; SGPRBlocks: 3
; VGPRBlocks: 21
; NumSGPRsForWavesPerEU: 26
; NumVGPRsForWavesPerEU: 171
; Occupancy: 5
; WaveLimiterHint : 1
; COMPUTE_PGM_RSRC2:SCRATCH_EN: 0
; COMPUTE_PGM_RSRC2:USER_SGPR: 6
; COMPUTE_PGM_RSRC2:TRAP_HANDLER: 0
; COMPUTE_PGM_RSRC2:TGID_X_EN: 1
; COMPUTE_PGM_RSRC2:TGID_Y_EN: 0
; COMPUTE_PGM_RSRC2:TGID_Z_EN: 0
; COMPUTE_PGM_RSRC2:TIDIG_COMP_CNT: 0
	.text
	.p2alignl 6, 3214868480
	.fill 48, 4, 3214868480
	.type	__hip_cuid_d1a28eaed562aef9,@object ; @__hip_cuid_d1a28eaed562aef9
	.section	.bss,"aw",@nobits
	.globl	__hip_cuid_d1a28eaed562aef9
__hip_cuid_d1a28eaed562aef9:
	.byte	0                               ; 0x0
	.size	__hip_cuid_d1a28eaed562aef9, 1

	.ident	"AMD clang version 19.0.0git (https://github.com/RadeonOpenCompute/llvm-project roc-6.4.0 25133 c7fe45cf4b819c5991fe208aaa96edf142730f1d)"
	.section	".note.GNU-stack","",@progbits
	.addrsig
	.addrsig_sym __hip_cuid_d1a28eaed562aef9
	.amdgpu_metadata
---
amdhsa.kernels:
  - .args:
      - .actual_access:  read_only
        .address_space:  global
        .offset:         0
        .size:           8
        .value_kind:     global_buffer
      - .offset:         8
        .size:           8
        .value_kind:     by_value
      - .actual_access:  read_only
        .address_space:  global
        .offset:         16
        .size:           8
        .value_kind:     global_buffer
      - .actual_access:  read_only
        .address_space:  global
        .offset:         24
        .size:           8
        .value_kind:     global_buffer
      - .offset:         32
        .size:           8
        .value_kind:     by_value
      - .actual_access:  read_only
        .address_space:  global
        .offset:         40
        .size:           8
        .value_kind:     global_buffer
      - .actual_access:  read_only
        .address_space:  global
        .offset:         48
        .size:           8
        .value_kind:     global_buffer
      - .offset:         56
        .size:           4
        .value_kind:     by_value
      - .actual_access:  read_only
        .address_space:  global
        .offset:         64
        .size:           8
        .value_kind:     global_buffer
      - .actual_access:  read_only
        .address_space:  global
        .offset:         72
        .size:           8
        .value_kind:     global_buffer
      - .address_space:  global
        .offset:         80
        .size:           8
        .value_kind:     global_buffer
    .group_segment_fixed_size: 0
    .kernarg_segment_align: 8
    .kernarg_segment_size: 88
    .language:       OpenCL C
    .language_version:
      - 2
      - 0
    .max_flat_workgroup_size: 90
    .name:           fft_rtc_back_len1440_factors_10_16_3_3_wgs_90_tpt_90_halfLds_dp_ip_CI_sbrr_dirReg
    .private_segment_fixed_size: 0
    .sgpr_count:     26
    .sgpr_spill_count: 0
    .symbol:         fft_rtc_back_len1440_factors_10_16_3_3_wgs_90_tpt_90_halfLds_dp_ip_CI_sbrr_dirReg.kd
    .uniform_work_group_size: 1
    .uses_dynamic_stack: false
    .vgpr_count:     171
    .vgpr_spill_count: 0
    .wavefront_size: 32
    .workgroup_processor_mode: 1
amdhsa.target:   amdgcn-amd-amdhsa--gfx1030
amdhsa.version:
  - 1
  - 2
...

	.end_amdgpu_metadata
